;; amdgpu-corpus repo=ROCm/aiter kind=harvested arch=n/a opt=n/a

/root/src/amdgpu-assembly/repos/ROCm__aiter/hsa/gfx950/fmoe/silu/fmoe_fp16_pertokenInt8_g1u1_vs_smf_silu_1tg_32x256.co:	file format elf64-amdgpu

Disassembly of section .text:

0000000000002e00 <_ZN5aiter50fmoe_fp16_pertokenInt8_g1u1_vs_smf_silu_1tg_32x256E>:
	s_and_b32 s1, s1, 0xffff                                   // 000000002E00: 8601FF01 0000FFFF
	s_load_dwordx2 s[8:9], s[0:1], 0x0                         // 000000002E08: C0060200 00000000
	s_load_dwordx2 s[20:21], s[0:1], 0x10                      // 000000002E10: C0060500 00000010
	s_load_dwordx2 s[24:25], s[0:1], 0x20                      // 000000002E18: C0060600 00000020
	s_load_dwordx2 s[50:51], s[0:1], 0x30                      // 000000002E20: C0060C80 00000030
	s_load_dwordx2 s[12:13], s[0:1], 0x40                      // 000000002E28: C0060300 00000040
	s_load_dwordx2 s[28:29], s[0:1], 0x50                      // 000000002E30: C0060700 00000050
	s_load_dwordx2 s[32:33], s[0:1], 0x60                      // 000000002E38: C0060800 00000060
	s_load_dwordx2 s[16:17], s[0:1], 0x70                      // 000000002E40: C0060400 00000070
	s_load_dwordx2 s[36:37], s[0:1], 0x80                      // 000000002E48: C0060900 00000080
	s_load_dwordx2 s[44:45], s[0:1], 0x90                      // 000000002E50: C0060B00 00000090
	s_load_dwordx2 s[40:41], s[0:1], 0xa0                      // 000000002E58: C0060A00 000000A0
	s_load_dwordx2 s[46:47], s[0:1], 0xb0                      // 000000002E60: C0060B80 000000B0
	s_load_dword s64, s[0:1], 0xc0                             // 000000002E68: C0021000 000000C0
	s_load_dword s65, s[0:1], 0xd0                             // 000000002E70: C0021040 000000D0
	s_load_dword s66, s[0:1], 0xe0                             // 000000002E78: C0021080 000000E0
	s_load_dword s67, s[0:1], 0xf0                             // 000000002E80: C00210C0 000000F0
	s_load_dword s68, s[0:1], 0x100                            // 000000002E88: C0021100 00000100
	s_load_dword s69, s[0:1], 0x110                            // 000000002E90: C0021140 00000110
	s_load_dword s70, s[0:1], 0x120                            // 000000002E98: C0021180 00000120
	s_load_dword s71, s[0:1], 0x130                            // 000000002EA0: C00211C0 00000130
	s_load_dword s72, s[0:1], 0x140                            // 000000002EA8: C0021200 00000140
	s_load_dword s73, s[0:1], 0x150                            // 000000002EB0: C0021240 00000150
	s_load_dword s74, s[0:1], 0x160                            // 000000002EB8: C0021280 00000160
	s_load_dword s75, s[0:1], 0x170                            // 000000002EC0: C00212C0 00000170
	s_load_dword s76, s[0:1], 0x180                            // 000000002EC8: C0021300 00000180
	s_load_dword s63, s[0:1], 0x190                            // 000000002ED0: C0020FC0 00000190
	v_lshrrev_b32_e32 v1, 10, v0                               // 000000002ED8: 2002008A
	v_lshrrev_b32_e32 v2, 10, v1                               // 000000002EDC: 2004028A
	v_and_b32_e32 v2, 0x3ff, v2                                // 000000002EE0: 260404FF 000003FF
	v_and_b32_e32 v1, 0x3ff, v1                                // 000000002EE8: 260202FF 000003FF
	v_and_b32_e32 v0, 0x3ff, v0                                // 000000002EF0: 260000FF 000003FF
	v_lshrrev_b32_e32 v3, 6, v0                                // 000000002EF8: 20060086
	v_and_b32_e32 v0, 63, v0                                   // 000000002EFC: 260000BF
	s_mov_b32 s60, s2                                          // 000000002F00: BEBC0002
	s_mov_b32 s2, s3                                           // 000000002F04: BE820003
	s_mov_b32 s3, s60                                          // 000000002F08: BE83003C
	v_readfirstlane_b32 s5, v3                                 // 000000002F0C: 7E0A0503
	s_waitcnt lgkmcnt(0)                                       // 000000002F10: BF8CC07F
	s_and_b32 s51, s51, 0xffff                                 // 000000002F14: 8633FF33 0000FFFF
	s_load_dword s50, s[50:51], 0x0                            // 000000002F1C: C0020C99 00000000
	s_and_b32 s45, s45, 0xffff                                 // 000000002F24: 862DFF2D 0000FFFF
	s_and_b32 s47, s47, 0xffff                                 // 000000002F2C: 862FFF2F 0000FFFF
	s_and_b32 s9, s9, 0xffff                                   // 000000002F34: 8609FF09 0000FFFF
	s_mul_i32 s60, s66, s68                                    // 000000002F3C: 923C4442
	s_mov_b32 s22, s60                                         // 000000002F40: BE96003C
	s_mov_b32 s26, -16                                         // 000000002F44: BE9A00D0
	s_mov_b32 s14, -16                                         // 000000002F48: BE8E00D0
	s_mov_b32 s42, -16                                         // 000000002F4C: BEAA00D0
	s_mov_b32 s30, -16                                         // 000000002F50: BE9E00D0
	s_mov_b32 s34, 0x400                                       // 000000002F54: BEA200FF 00000400
	s_mov_b32 s38, 0x400                                       // 000000002F5C: BEA600FF 00000400
	s_mov_b32 s18, -16                                         // 000000002F64: BE9200D0
	s_mov_b32 s23, 0x20000                                     // 000000002F68: BE9700FF 00020000
	s_mov_b32 s27, 0x20000                                     // 000000002F70: BE9B00FF 00020000
	s_mov_b32 s15, 0x20000                                     // 000000002F78: BE8F00FF 00020000
	s_mov_b32 s43, 0x20000                                     // 000000002F80: BEAB00FF 00020000
	s_mov_b32 s31, 0x20000                                     // 000000002F88: BE9F00FF 00020000
	s_mov_b32 s35, 0x20000                                     // 000000002F90: BEA300FF 00020000
	s_mov_b32 s39, 0x20000                                     // 000000002F98: BEA700FF 00020000
	s_mov_b32 s19, 0x20000                                     // 000000002FA0: BE9300FF 00020000
	s_and_b32 s21, s21, 0xffff                                 // 000000002FA8: 8615FF15 0000FFFF
	s_and_b32 s25, s25, 0xffff                                 // 000000002FB0: 8619FF19 0000FFFF
	s_and_b32 s13, s13, 0xffff                                 // 000000002FB8: 860DFF0D 0000FFFF
	s_and_b32 s41, s41, 0xffff                                 // 000000002FC0: 8629FF29 0000FFFF
	s_and_b32 s29, s29, 0xffff                                 // 000000002FC8: 861DFF1D 0000FFFF
	s_and_b32 s33, s33, 0xffff                                 // 000000002FD0: 8621FF21 0000FFFF
	s_and_b32 s37, s37, 0xffff                                 // 000000002FD8: 8625FF25 0000FFFF
	s_and_b32 s17, s17, 0xffff                                 // 000000002FE0: 8611FF11 0000FFFF
	s_or_b32 s21, s21, 0x40000                                 // 000000002FE8: 8715FF15 00040000
	s_or_b32 s25, s25, 0x40000                                 // 000000002FF0: 8719FF19 00040000
	s_or_b32 s13, s13, 0x40000                                 // 000000002FF8: 870DFF0D 00040000
	s_or_b32 s41, s41, 0x40000                                 // 000000003000: 8729FF29 00040000
	s_or_b32 s29, s29, 0x40000                                 // 000000003008: 871DFF1D 00040000
	s_or_b32 s33, s33, 0x40000                                 // 000000003010: 8721FF21 00040000
	s_or_b32 s37, s37, 0x40000                                 // 000000003018: 8725FF25 00040000
	s_or_b32 s17, s17, 0x40000                                 // 000000003020: 8711FF11 00040000
	v_accvgpr_write_b32 a127, 0                                // 000000003028: D3D9407F 18000080
	v_mov_b32_e32 v223, 0                                      // 000000003030: 7FBE0280
	s_waitcnt lgkmcnt(0)                                       // 000000003034: BF8CC07F
	s_mul_i32 s60, s3, 32                                      // 000000003038: 923CA003
	s_cmp_lt_i32 s60, s50                                      // 00000000303C: BF04323C
	s_cbranch_scc0 label_2323                                  // 000000003040: BF842292
	s_mov_b32 s80, 0                                           // 000000003044: BED00080
	s_mov_b32 s81, s64                                         // 000000003048: BED10040
	s_mul_i32 s60, s3, 4                                       // 00000000304C: 923C8403
	s_add_u32 s46, s60, s46                                    // 000000003050: 802E2E3C
	s_addc_u32 s47, 0, s47                                     // 000000003054: 822F2F80
	s_load_dword s77, s[46:47], 0x0                            // 000000003058: C0021357 00000000
	s_mul_i32 s60, s3, 32                                      // 000000003060: 923CA003
	s_add_u32 s60, s5, s60                                     // 000000003064: 803C3C05
	s_mul_i32 s60, 4, s60                                      // 000000003068: 923C3C84
	s_add_u32 s44, s60, s44                                    // 00000000306C: 802C2C3C
	s_addc_u32 s45, 0, s45                                     // 000000003070: 822D2D80
	s_load_dword s82, s[44:45], 0x0                            // 000000003074: C0021496 00000000
	s_load_dword s83, s[44:45], 0x10                           // 00000000307C: C00214D6 00000010
	s_load_dword s84, s[44:45], 0x20                           // 000000003084: C0021516 00000020
	s_load_dword s85, s[44:45], 0x30                           // 00000000308C: C0021556 00000030
	s_load_dword s86, s[44:45], 0x40                           // 000000003094: C0021596 00000040
	s_load_dword s87, s[44:45], 0x50                           // 00000000309C: C00215D6 00000050
	s_load_dword s88, s[44:45], 0x60                           // 0000000030A4: C0021616 00000060
	s_load_dword s89, s[44:45], 0x70                           // 0000000030AC: C0021656 00000070
	s_waitcnt lgkmcnt(0)                                       // 0000000030B4: BF8CC07F
	v_lshlrev_b32_e32 v38, 2, v0                               // 0000000030B8: 244C0082
	s_and_b32 s82, s82, 0xffffff                               // 0000000030BC: 8652FF52 00FFFFFF
	s_mul_i32 s60, s82, s68                                    // 0000000030C4: 923C4452
	v_add_u32_e64 v26, v38, s60                                // 0000000030C8: D134001A 00007926
	s_and_b32 s83, s83, 0xffffff                               // 0000000030D0: 8653FF53 00FFFFFF
	s_mul_i32 s60, s83, s68                                    // 0000000030D8: 923C4453
	v_add_u32_e64 v27, v38, s60                                // 0000000030DC: D134001B 00007926
	s_and_b32 s84, s84, 0xffffff                               // 0000000030E4: 8654FF54 00FFFFFF
	s_mul_i32 s60, s84, s68                                    // 0000000030EC: 923C4454
	v_add_u32_e64 v28, v38, s60                                // 0000000030F0: D134001C 00007926
	s_and_b32 s85, s85, 0xffffff                               // 0000000030F8: 8655FF55 00FFFFFF
	s_mul_i32 s60, s85, s68                                    // 000000003100: 923C4455
	v_add_u32_e64 v29, v38, s60                                // 000000003104: D134001D 00007926
	s_and_b32 s86, s86, 0xffffff                               // 00000000310C: 8656FF56 00FFFFFF
	s_mul_i32 s60, s86, s68                                    // 000000003114: 923C4456
	v_add_u32_e64 v30, v38, s60                                // 000000003118: D134001E 00007926
	s_and_b32 s87, s87, 0xffffff                               // 000000003120: 8657FF57 00FFFFFF
	s_mul_i32 s60, s87, s68                                    // 000000003128: 923C4457
	v_add_u32_e64 v31, v38, s60                                // 00000000312C: D134001F 00007926
	s_and_b32 s88, s88, 0xffffff                               // 000000003134: 8658FF58 00FFFFFF
	s_mul_i32 s60, s88, s68                                    // 00000000313C: 923C4458
	v_add_u32_e64 v32, v38, s60                                // 000000003140: D1340020 00007926
	s_and_b32 s89, s89, 0xffffff                               // 000000003148: 8659FF59 00FFFFFF
	s_mul_i32 s60, s89, s68                                    // 000000003150: 923C4459
	v_add_u32_e64 v33, v38, s60                                // 000000003154: D1340021 00007926
	v_lshlrev_b32_e32 v38, 2, v0                               // 00000000315C: 244C0082
	s_mul_i32 s60, s82, s71                                    // 000000003160: 923C4752
	v_add_u32_e64 v80, v38, s60                                // 000000003164: D1340050 00007926
	v_mov_b32_e32 v81, 0                                       // 00000000316C: 7EA20280
	s_mul_i32 s60, s83, s71                                    // 000000003170: 923C4753
	v_add_u32_e64 v82, v38, s60                                // 000000003174: D1340052 00007926
	v_mov_b32_e32 v83, 0                                       // 00000000317C: 7EA60280
	s_mul_i32 s60, s84, s71                                    // 000000003180: 923C4754
	v_add_u32_e64 v84, v38, s60                                // 000000003184: D1340054 00007926
	v_mov_b32_e32 v85, 0                                       // 00000000318C: 7EAA0280
	s_mul_i32 s60, s85, s71                                    // 000000003190: 923C4755
	v_add_u32_e64 v86, v38, s60                                // 000000003194: D1340056 00007926
	v_mov_b32_e32 v87, 0                                       // 00000000319C: 7EAE0280
	s_mul_i32 s60, s86, s71                                    // 0000000031A0: 923C4756
	v_add_u32_e64 v88, v38, s60                                // 0000000031A4: D1340058 00007926
	v_mov_b32_e32 v89, 0                                       // 0000000031AC: 7EB20280
	s_mul_i32 s60, s87, s71                                    // 0000000031B0: 923C4757
	v_add_u32_e64 v90, v38, s60                                // 0000000031B4: D134005A 00007926
	v_mov_b32_e32 v91, 0                                       // 0000000031BC: 7EB60280
	s_mul_i32 s60, s88, s71                                    // 0000000031C0: 923C4758
	v_add_u32_e64 v92, v38, s60                                // 0000000031C4: D134005C 00007926
	v_mov_b32_e32 v93, 0                                       // 0000000031CC: 7EBA0280
	s_mul_i32 s60, s89, s71                                    // 0000000031D0: 923C4759
	v_add_u32_e64 v94, v38, s60                                // 0000000031D4: D134005E 00007926
	v_mov_b32_e32 v95, 0                                       // 0000000031DC: 7EBE0280
	s_mul_i32 s60, s5, 0x208                                   // 0000000031E0: 923CFF05 00000208
	s_add_u32 s50, 0x800, s60                                  // 0000000031E8: 80323CFF 00000800
	s_add_u32 s51, 0x4100, s50                                 // 0000000031F0: 803332FF 00004100
	v_lshrrev_b32_e32 v38, 4, v0                               // 0000000031F8: 204C0084
	v_lshlrev_b32_e32 v39, 1, v38                              // 0000000031FC: 244E4C81
	v_and_b32_e32 v38, 15, v0                                  // 000000003200: 264C008F
	v_mul_i32_i24_e32 v38, 0x82, v38                           // 000000003204: 0C4C4CFF 00000082
	v_add_u32_e32 v39, v38, v39                                // 00000000320C: 684E4F26
	v_lshlrev_b32_e32 v2, 2, v39                               // 000000003210: 24044E82
	s_mul_i32 s60, s5, 32                                      // 000000003214: 923CA005
	v_add_u32_e32 v2, s60, v2                                  // 000000003218: 6804043C
	v_lshlrev_b32_e32 v38, 3, v0                               // 00000000321C: 244C0083
	s_mul_i32 s60, 0x200, s5                                   // 000000003220: 923C05FF 00000200
	v_add_u32_e32 v3, s60, v38                                 // 000000003228: 68064C3C
	v_and_b32_e32 v38, 15, v0                                  // 00000000322C: 264C008F
	v_lshlrev_b32_e32 v4, 3, v38                               // 000000003230: 24084C83
	v_lshrrev_b32_e32 v38, 5, v0                               // 000000003234: 204C0085
	v_lshlrev_b32_e32 v39, 5, v38                              // 000000003238: 244E4C85
	v_and_b32_e32 v38, 31, v0                                  // 00000000323C: 264C009F
	v_lshrrev_b32_e32 v40, 4, v38                              // 000000003240: 20504C84
	v_add_u32_e32 v39, v40, v39                                // 000000003244: 684E4F28
	v_and_b32_e32 v38, 15, v0                                  // 000000003248: 264C008F
	v_lshlrev_b32_e32 v38, 1, v38                              // 00000000324C: 244C4C81
	v_add_u32_e32 v39, v38, v39                                // 000000003250: 684E4F26
	v_lshlrev_b32_e32 v38, 2, v39                              // 000000003254: 244C4E82
	s_mul_i32 s60, 0x100, s5                                   // 000000003258: 923C05FF 00000100
	v_add_u32_e64 v11, v38, s60                                // 000000003260: D134000B 00007926
	v_lshrrev_b32_e32 v38, 4, v0                               // 000000003268: 204C0084
	v_lshlrev_b32_e32 v39, 6, v38                              // 00000000326C: 244E4C86
	v_and_b32_e32 v38, 15, v0                                  // 000000003270: 264C008F
	v_lshlrev_b32_e32 v38, 1, v38                              // 000000003274: 244C4C81
	v_add_u32_e32 v39, v38, v39                                // 000000003278: 684E4F26
	v_lshlrev_b32_e32 v12, 2, v39                              // 00000000327C: 24184E82
	s_mul_i32 s60, s2, 0x100                                   // 000000003280: 923CFF02 00000100
	s_mul_i32 s60, s60, s69                                    // 000000003288: 923C453C
	s_mul_i32 s61, s77, s72                                    // 00000000328C: 923D484D
	s_add_u32 s60, s61, s60                                    // 000000003290: 803C3C3D
	s_add_u32 s24, s60, s24                                    // 000000003294: 8018183C
	s_addc_u32 s25, 0, s25                                     // 000000003298: 82191980
	s_mul_i32 s60, s5, 16                                      // 00000000329C: 923C9005
	s_mul_i32 s60, s60, s69                                    // 0000000032A0: 923C453C
	v_lshlrev_b32_e32 v34, 4, v0                               // 0000000032A4: 24440084
	v_add_u32_e32 v34, s60, v34                                // 0000000032A8: 6844443C
	s_mul_i32 s60, 64, s69                                     // 0000000032AC: 923C45C0
	v_add_u32_e32 v35, s60, v34                                // 0000000032B0: 6846443C
	v_add_u32_e32 v36, s60, v35                                // 0000000032B4: 6848463C
	v_add_u32_e32 v37, s60, v36                                // 0000000032B8: 684A483C
	s_mov_b32 s92, s24                                         // 0000000032BC: BEDC0018
	s_mov_b32 s93, s25                                         // 0000000032C0: BEDD0019
	s_mov_b32 s94, s26                                         // 0000000032C4: BEDE001A
	s_mov_b32 s95, s27                                         // 0000000032C8: BEDF001B
	s_mul_i32 s60, s69, s65                                    // 0000000032CC: 923C4145
	s_add_u32 s92, s60, s92                                    // 0000000032D0: 805C5C3C
	s_addc_u32 s93, 0, s93                                     // 0000000032D4: 825D5D80
	s_mul_i32 s60, s2, 0x1000                                  // 0000000032D8: 923CFF02 00001000
	s_mul_i32 s61, s77, s73                                    // 0000000032E0: 923D494D
	s_add_u32 s60, s61, s60                                    // 0000000032E4: 803C3C3D
	s_add_u32 s12, s60, s12                                    // 0000000032E8: 800C0C3C
	s_addc_u32 s13, 0, s13                                     // 0000000032EC: 820D0D80
	s_mul_i32 s60, s70, 0x100                                  // 0000000032F0: 923CFF46 00000100
	s_mov_b32 s78, 0x400                                       // 0000000032F8: BECE00FF 00000400
	s_mul_i32 s61, s78, 3                                      // 000000003300: 923D834E
	s_sub_u32 s56, s60, s61                                    // 000000003304: 80B83D3C
	s_mul_i32 s60, s3, 32                                      // 000000003308: 923CA003
	s_mul_i32 s60, 4, s60                                      // 00000000330C: 923C3C84
	s_add_u32 s40, s60, s40                                    // 000000003310: 8028283C
	s_addc_u32 s41, 0, s41                                     // 000000003314: 82292980
	v_and_b32_e32 v38, 15, v0                                  // 000000003318: 264C008F
	v_lshlrev_b32_e32 v8, 2, v38                               // 00000000331C: 24104C82
	v_add_u32_e32 v9, 64, v8                                   // 000000003320: 681210C0
	v_lshrrev_b32_e32 v38, 4, v0                               // 000000003324: 204C0084
	v_lshlrev_b32_e32 v39, 2, v38                              // 000000003328: 244E4C82
	v_and_b32_e32 v38, 15, v0                                  // 00000000332C: 264C008F
	v_lshrrev_b32_e32 v40, 2, v38                              // 000000003330: 20504C82
	v_lshlrev_b32_e32 v40, 6, v40                              // 000000003334: 24505086
	v_add_u32_e32 v39, v40, v39                                // 000000003338: 684E4F28
	v_and_b32_e32 v38, 3, v0                                   // 00000000333C: 264C0083
	v_add_u32_e32 v39, v38, v39                                // 000000003340: 684E4F26
	v_lshlrev_b32_e32 v10, 2, v39                              // 000000003344: 24144E82
	s_mul_i32 s60, s5, 16                                      // 000000003348: 923C9005
	s_mul_i32 s60, s60, 4                                      // 00000000334C: 923C843C
	v_add_u32_e32 v10, s60, v10                                // 000000003350: 6814143C
	v_mov_b32_e32 v5, v10                                      // 000000003354: 7E0A030A
	v_mov_b32_e32 v6, v10                                      // 000000003358: 7E0C030A
	s_mul_i32 s60, s2, 0x100                                   // 00000000335C: 923CFF02 00000100
	s_mul_i32 s60, s60, 4                                      // 000000003364: 923C843C
	s_mul_i32 s61, s77, s74                                    // 000000003368: 923D4A4D
	s_add_u32 s61, s61, s60                                    // 00000000336C: 803D3C3D
	s_mul_i32 s62, s77, s76                                    // 000000003370: 923E4C4D
	s_add_u32 s62, s62, s60                                    // 000000003374: 803E3C3E
	s_add_u32 s32, s61, s32                                    // 000000003378: 8020203D
	s_addc_u32 s33, 0, s33                                     // 00000000337C: 82212180
	s_add_u32 s36, s62, s36                                    // 000000003380: 8024243E
	s_addc_u32 s37, 0, s37                                     // 000000003384: 82252580
	s_mul_i32 s60, s77, s75                                    // 000000003388: 923C4B4D
	s_add_u32 s16, s60, s16                                    // 00000000338C: 8010103C
	s_addc_u32 s17, 0, s17                                     // 000000003390: 82111180
	s_add_u32 s28, s60, s28                                    // 000000003394: 801C1C3C
	s_addc_u32 s29, 0, s29                                     // 000000003398: 821D1D80
	s_mov_b32 s57, 0x200                                       // 00000000339C: BEB900FF 00000200
	s_mov_b32 s58, 0x1000                                      // 0000000033A4: BEBA00FF 00001000
	s_mov_b32 s79, 0x400                                       // 0000000033AC: BECF00FF 00000400
	s_mov_b32 s91, 0x400                                       // 0000000033B4: BEDB00FF 00000400
	s_mov_b32 s59, 0                                           // 0000000033BC: BEBB0080
	s_mov_b32 s90, s58                                         // 0000000033C0: BEDA003A
	s_mov_b32 s52, 0x7060302                                   // 0000000033C4: BEB400FF 07060302
	s_mov_b32 s53, 0x400                                       // 0000000033CC: BEB500FF 00000400
	s_mov_b32 s54, 0x40100                                     // 0000000033D4: BEB600FF 00040100
	s_mov_b32 s55, 0x4020100                                   // 0000000033DC: BEB700FF 04020100
	s_mov_b32 s6, 0x3fb8aa3b                                   // 0000000033E4: BE8600FF 3FB8AA3B
	s_mov_b32 s7, 0x3fb8aa3b                                   // 0000000033EC: BE8700FF 3FB8AA3B
	s_mov_b32 s3, 0xbd92220c                                   // 0000000033F4: BE8300FF BD92220C
	s_mov_b32 s4, 0xbd92220c                                   // 0000000033FC: BE8400FF BD92220C
	s_mov_b32 m0, s50                                          // 000000003404: BEFC0032
	v_mov_b32_e32 v50, 0xbfcc4231                              // 000000003408: 7E6402FF BFCC4231
	v_mov_b32_e32 v51, 0xbfcc4231                              // 000000003410: 7E6602FF BFCC4231
	v_mov_b32_e32 v47, 0xffff0000                              // 000000003418: 7E5E02FF FFFF0000
	v_mov_b32_e32 v48, 0x7fff0000                              // 000000003420: 7E6002FF 7FFF0000
	v_mov_b32_e32 v49, 0x7fff                                  // 000000003428: 7E6202FF 00007FFF
	buffer_load_dword v17, v8, s[40:43], 0 offen               // 000000003430: E0501000 800A1108
	buffer_load_dword v18, v9, s[40:43], 0 offen               // 000000003438: E0501000 800A1209
	buffer_load_dword v15, v10, s[32:35], 0 offen              // 000000003440: E0501000 80080F0A
	s_mul_i32 s60, 4, s65                                      // 000000003448: 923C4184
	s_add_u32 s32, s60, s32                                    // 00000000344C: 8020203C
	s_addc_u32 s33, 0, s33                                     // 000000003450: 82212180
	buffer_load_dword v8, v10, s[32:35], 0 offen               // 000000003454: E0501000 8008080A
	buffer_load_dword v16, v10, s[36:39], 0 offen              // 00000000345C: E0501000 8009100A
	buffer_load_dword v13, v6, s[28:31], 0 offen               // 000000003464: E0501000 80070D06
	s_add_u32 s28, s91, s28                                    // 00000000346C: 801C1C5B
	s_addc_u32 s29, 0, s29                                     // 000000003470: 821D1D80
	buffer_load_dword v26, s[20:23], 0 offen lds               // 000000003474: E0511000 8005001A
	buffer_load_dword v26, s[20:23], 0 offen offset:256 lds    // 00000000347C: E0511100 8005001A
	s_add_u32 m0, 0x820, s50                                   // 000000003484: 807C32FF 00000820
	buffer_load_dword v27, s[20:23], 0 offen lds               // 00000000348C: E0511000 8005001B
	buffer_load_dword v27, s[20:23], 0 offen offset:256 lds    // 000000003494: E0511100 8005001B
	s_add_u32 m0, 0x1040, s50                                  // 00000000349C: 807C32FF 00001040
	buffer_load_dword v28, s[20:23], 0 offen lds               // 0000000034A4: E0511000 8005001C
	buffer_load_dword v28, s[20:23], 0 offen offset:256 lds    // 0000000034AC: E0511100 8005001C
	s_add_u32 m0, 0x1860, s50                                  // 0000000034B4: 807C32FF 00001860
	buffer_load_dword v29, s[20:23], 0 offen lds               // 0000000034BC: E0511000 8005001D
	buffer_load_dword v29, s[20:23], 0 offen offset:256 lds    // 0000000034C4: E0511100 8005001D
	s_add_u32 m0, 0x2080, s50                                  // 0000000034CC: 807C32FF 00002080
	buffer_load_dword v30, s[20:23], 0 offen lds               // 0000000034D4: E0511000 8005001E
	buffer_load_dword v30, s[20:23], 0 offen offset:256 lds    // 0000000034DC: E0511100 8005001E
	s_add_u32 m0, 0x28a0, s50                                  // 0000000034E4: 807C32FF 000028A0
	buffer_load_dword v31, s[20:23], 0 offen lds               // 0000000034EC: E0511000 8005001F
	buffer_load_dword v31, s[20:23], 0 offen offset:256 lds    // 0000000034F4: E0511100 8005001F
	s_add_u32 m0, 0x30c0, s50                                  // 0000000034FC: 807C32FF 000030C0
	buffer_load_dword v32, s[20:23], 0 offen lds               // 000000003504: E0511000 80050020
	buffer_load_dword v32, s[20:23], 0 offen offset:256 lds    // 00000000350C: E0511100 80050020
	s_add_u32 m0, 0x38e0, s50                                  // 000000003514: 807C32FF 000038E0
	buffer_load_dword v33, s[20:23], 0 offen lds               // 00000000351C: E0511000 80050021
	buffer_load_dword v33, s[20:23], 0 offen offset:256 lds    // 000000003524: E0511100 80050021
	s_add_u32 m0, 0, s51                                       // 00000000352C: 807C3380
	s_add_u32 s20, s57, s20                                    // 000000003530: 80141439
	s_addc_u32 s21, 0, s21                                     // 000000003534: 82151580
	buffer_load_dwordx4 a[0:3], v34, s[24:27], 0 offen         // 000000003538: E05C1000 80860022
	buffer_load_dwordx4 a[4:7], v34, s[24:27], 0 offen offset:1024// 000000003540: E05C1400 80860422
	buffer_load_dwordx4 a[8:11], v34, s[24:27], 0 offen offset:2048// 000000003548: E05C1800 80860822
	buffer_load_dwordx4 a[12:15], v34, s[24:27], 0 offen offset:3072// 000000003550: E05C1C00 80860C22
	buffer_load_dwordx4 a[16:19], v35, s[24:27], 0 offen       // 000000003558: E05C1000 80861023
	buffer_load_dwordx4 a[20:23], v35, s[24:27], 0 offen offset:1024// 000000003560: E05C1400 80861423
	buffer_load_dwordx4 a[24:27], v35, s[24:27], 0 offen offset:2048// 000000003568: E05C1800 80861823
	buffer_load_dwordx4 a[28:31], v35, s[24:27], 0 offen offset:3072// 000000003570: E05C1C00 80861C23
	buffer_load_dwordx4 a[32:35], v36, s[24:27], 0 offen       // 000000003578: E05C1000 80862024
	buffer_load_dwordx4 a[36:39], v36, s[24:27], 0 offen offset:1024// 000000003580: E05C1400 80862424
	buffer_load_dwordx4 a[40:43], v36, s[24:27], 0 offen offset:2048// 000000003588: E05C1800 80862824
	buffer_load_dwordx4 a[44:47], v36, s[24:27], 0 offen offset:3072// 000000003590: E05C1C00 80862C24
	buffer_load_dwordx4 a[48:51], v37, s[24:27], 0 offen       // 000000003598: E05C1000 80863025
	buffer_load_dwordx4 a[52:55], v37, s[24:27], 0 offen offset:1024// 0000000035A0: E05C1400 80863425
	buffer_load_dwordx4 a[56:59], v37, s[24:27], 0 offen offset:2048// 0000000035A8: E05C1800 80863825
	buffer_load_dwordx4 a[60:63], v37, s[24:27], 0 offen offset:3072// 0000000035B0: E05C1C00 80863C25
	s_add_u32 s24, s58, s24                                    // 0000000035B8: 8018183A
	s_addc_u32 s25, 0, s25                                     // 0000000035BC: 82191980
	v_mov_b32_e32 v128, 0                                      // 0000000035C0: 7F000280
	v_mov_b32_e32 v64, 0                                       // 0000000035C4: 7E800280
	v_mov_b32_e32 v129, 0                                      // 0000000035C8: 7F020280
	v_mov_b32_e32 v65, 0                                       // 0000000035CC: 7E820280
	v_mov_b32_e32 v130, 0                                      // 0000000035D0: 7F040280
	v_mov_b32_e32 v66, 0                                       // 0000000035D4: 7E840280
	v_mov_b32_e32 v131, 0                                      // 0000000035D8: 7F060280
	v_mov_b32_e32 v67, 0                                       // 0000000035DC: 7E860280
	v_mov_b32_e32 v132, 0                                      // 0000000035E0: 7F080280
	v_mov_b32_e32 v68, 0                                       // 0000000035E4: 7E880280
	v_mov_b32_e32 v133, 0                                      // 0000000035E8: 7F0A0280
	v_mov_b32_e32 v69, 0                                       // 0000000035EC: 7E8A0280
	v_mov_b32_e32 v134, 0                                      // 0000000035F0: 7F0C0280
	v_mov_b32_e32 v70, 0                                       // 0000000035F4: 7E8C0280
	v_mov_b32_e32 v135, 0                                      // 0000000035F8: 7F0E0280
	v_mov_b32_e32 v71, 0                                       // 0000000035FC: 7E8E0280
	v_mov_b32_e32 v136, 0                                      // 000000003600: 7F100280
	v_mov_b32_e32 v72, 0                                       // 000000003604: 7E900280
	v_mov_b32_e32 v137, 0                                      // 000000003608: 7F120280
	v_mov_b32_e32 v73, 0                                       // 00000000360C: 7E920280
	v_mov_b32_e32 v138, 0                                      // 000000003610: 7F140280
	v_mov_b32_e32 v74, 0                                       // 000000003614: 7E940280
	v_mov_b32_e32 v139, 0                                      // 000000003618: 7F160280
	v_mov_b32_e32 v75, 0                                       // 00000000361C: 7E960280
	v_mov_b32_e32 v140, 0                                      // 000000003620: 7F180280
	v_mov_b32_e32 v76, 0                                       // 000000003624: 7E980280
	v_mov_b32_e32 v141, 0                                      // 000000003628: 7F1A0280
	v_mov_b32_e32 v77, 0                                       // 00000000362C: 7E9A0280
	v_mov_b32_e32 v142, 0                                      // 000000003630: 7F1C0280
	v_mov_b32_e32 v78, 0                                       // 000000003634: 7E9C0280
	v_mov_b32_e32 v143, 0                                      // 000000003638: 7F1E0280
	v_mov_b32_e32 v79, 0                                       // 00000000363C: 7E9E0280
	v_mov_b32_e32 v144, 0                                      // 000000003640: 7F200280
	v_mov_b32_e32 v80, 0                                       // 000000003644: 7EA00280
	v_mov_b32_e32 v145, 0                                      // 000000003648: 7F220280
	v_mov_b32_e32 v81, 0                                       // 00000000364C: 7EA20280
	v_mov_b32_e32 v146, 0                                      // 000000003650: 7F240280
	v_mov_b32_e32 v82, 0                                       // 000000003654: 7EA40280
	v_mov_b32_e32 v147, 0                                      // 000000003658: 7F260280
	v_mov_b32_e32 v83, 0                                       // 00000000365C: 7EA60280
	v_mov_b32_e32 v148, 0                                      // 000000003660: 7F280280
	v_mov_b32_e32 v84, 0                                       // 000000003664: 7EA80280
	v_mov_b32_e32 v149, 0                                      // 000000003668: 7F2A0280
	v_mov_b32_e32 v85, 0                                       // 00000000366C: 7EAA0280
	v_mov_b32_e32 v150, 0                                      // 000000003670: 7F2C0280
	v_mov_b32_e32 v86, 0                                       // 000000003674: 7EAC0280
	v_mov_b32_e32 v151, 0                                      // 000000003678: 7F2E0280
	v_mov_b32_e32 v87, 0                                       // 00000000367C: 7EAE0280
	v_mov_b32_e32 v152, 0                                      // 000000003680: 7F300280
	v_mov_b32_e32 v88, 0                                       // 000000003684: 7EB00280
	v_mov_b32_e32 v153, 0                                      // 000000003688: 7F320280
	v_mov_b32_e32 v89, 0                                       // 00000000368C: 7EB20280
	v_mov_b32_e32 v154, 0                                      // 000000003690: 7F340280
	v_mov_b32_e32 v90, 0                                       // 000000003694: 7EB40280
	v_mov_b32_e32 v155, 0                                      // 000000003698: 7F360280
	v_mov_b32_e32 v91, 0                                       // 00000000369C: 7EB60280
	v_mov_b32_e32 v156, 0                                      // 0000000036A0: 7F380280
	v_mov_b32_e32 v92, 0                                       // 0000000036A4: 7EB80280
	v_mov_b32_e32 v157, 0                                      // 0000000036A8: 7F3A0280
	v_mov_b32_e32 v93, 0                                       // 0000000036AC: 7EBA0280
	v_mov_b32_e32 v158, 0                                      // 0000000036B0: 7F3C0280
	v_mov_b32_e32 v94, 0                                       // 0000000036B4: 7EBC0280
	v_mov_b32_e32 v159, 0                                      // 0000000036B8: 7F3E0280
	v_mov_b32_e32 v95, 0                                       // 0000000036BC: 7EBE0280
	s_waitcnt vmcnt(16)                                        // 0000000036C0: BF8C4F70
	s_barrier                                                  // 0000000036C4: BF8A0000
	ds_read_b64 v[160:161], v2 offset:2048                     // 0000000036C8: D8EC0800 A0000002
	ds_read_b64 v[164:165], v2 offset:10368                    // 0000000036D0: D8EC2880 A4000002
	ds_read_b64 v[168:169], v2 offset:2176                     // 0000000036D8: D8EC0880 A8000002
	ds_read_b64 v[172:173], v2 offset:10496                    // 0000000036E0: D8EC2900 AC000002
	ds_read_b64 v[176:177], v2 offset:2304                     // 0000000036E8: D8EC0900 B0000002
	ds_read_b64 v[180:181], v2 offset:10624                    // 0000000036F0: D8EC2980 B4000002
	ds_read_b64 v[184:185], v2 offset:2432                     // 0000000036F8: D8EC0980 B8000002
	ds_read_b64 v[188:189], v2 offset:10752                    // 000000003700: D8EC2A00 BC000002
	s_waitcnt lgkmcnt(0)                                       // 000000003708: BF8CC07F
	v_and_b32_e32 v163, 0xffff0000, v161                       // 00000000370C: 274742FF FFFF0000
	v_lshlrev_b32_e32 v162, 16, v161                           // 000000003714: 25454290
	v_and_b32_e32 v161, 0xffff0000, v160                       // 000000003718: 274340FF FFFF0000
	v_lshlrev_b32_e32 v160, 16, v160                           // 000000003720: 25414090
	v_and_b32_e32 v167, 0xffff0000, v165                       // 000000003724: 274F4AFF FFFF0000
	v_lshlrev_b32_e32 v166, 16, v165                           // 00000000372C: 254D4A90
	v_and_b32_e32 v165, 0xffff0000, v164                       // 000000003730: 274B48FF FFFF0000
	v_lshlrev_b32_e32 v164, 16, v164                           // 000000003738: 25494890
	v_and_b32_e32 v171, 0xffff0000, v169                       // 00000000373C: 275752FF FFFF0000
	v_lshlrev_b32_e32 v170, 16, v169                           // 000000003744: 25555290
	v_and_b32_e32 v169, 0xffff0000, v168                       // 000000003748: 275350FF FFFF0000
	v_lshlrev_b32_e32 v168, 16, v168                           // 000000003750: 25515090
	v_and_b32_e32 v175, 0xffff0000, v173                       // 000000003754: 275F5AFF FFFF0000
	v_lshlrev_b32_e32 v174, 16, v173                           // 00000000375C: 255D5A90
	v_and_b32_e32 v173, 0xffff0000, v172                       // 000000003760: 275B58FF FFFF0000
	v_lshlrev_b32_e32 v172, 16, v172                           // 000000003768: 25595890
	v_and_b32_e32 v179, 0xffff0000, v177                       // 00000000376C: 276762FF FFFF0000
	v_lshlrev_b32_e32 v178, 16, v177                           // 000000003774: 25656290
	v_and_b32_e32 v177, 0xffff0000, v176                       // 000000003778: 276360FF FFFF0000
	v_lshlrev_b32_e32 v176, 16, v176                           // 000000003780: 25616090
	v_and_b32_e32 v183, 0xffff0000, v181                       // 000000003784: 276F6AFF FFFF0000
	v_lshlrev_b32_e32 v182, 16, v181                           // 00000000378C: 256D6A90
	v_and_b32_e32 v181, 0xffff0000, v180                       // 000000003790: 276B68FF FFFF0000
	v_lshlrev_b32_e32 v180, 16, v180                           // 000000003798: 25696890
	v_and_b32_e32 v187, 0xffff0000, v185                       // 00000000379C: 277772FF FFFF0000
	v_lshlrev_b32_e32 v186, 16, v185                           // 0000000037A4: 25757290
	v_and_b32_e32 v185, 0xffff0000, v184                       // 0000000037A8: 277370FF FFFF0000
	v_lshlrev_b32_e32 v184, 16, v184                           // 0000000037B0: 25717090
	v_and_b32_e32 v191, 0xffff0000, v189                       // 0000000037B4: 277F7AFF FFFF0000
	v_lshlrev_b32_e32 v190, 16, v189                           // 0000000037BC: 257D7A90
	v_and_b32_e32 v189, 0xffff0000, v188                       // 0000000037C0: 277B78FF FFFF0000
	v_lshlrev_b32_e32 v188, 16, v188                           // 0000000037C8: 25797890
	v_mul_f32_dpp v160, v13, v160 row_newbcast:0 row_mask:0xf bank_mask:0xf// 0000000037CC: 0B4140FA FF01500D
	v_mul_f32_dpp v161, v13, v161 row_newbcast:1 row_mask:0xf bank_mask:0xf// 0000000037D4: 0B4342FA FF01510D
	v_mul_f32_dpp v162, v13, v162 row_newbcast:2 row_mask:0xf bank_mask:0xf// 0000000037DC: 0B4544FA FF01520D
	v_mul_f32_dpp v163, v13, v163 row_newbcast:3 row_mask:0xf bank_mask:0xf// 0000000037E4: 0B4746FA FF01530D
	v_mul_f32_dpp v164, v13, v164 row_newbcast:0 row_mask:0xf bank_mask:0xf// 0000000037EC: 0B4948FA FF01500D
	v_mul_f32_dpp v165, v13, v165 row_newbcast:1 row_mask:0xf bank_mask:0xf// 0000000037F4: 0B4B4AFA FF01510D
	v_mul_f32_dpp v166, v13, v166 row_newbcast:2 row_mask:0xf bank_mask:0xf// 0000000037FC: 0B4D4CFA FF01520D
	v_mul_f32_dpp v167, v13, v167 row_newbcast:3 row_mask:0xf bank_mask:0xf// 000000003804: 0B4F4EFA FF01530D
	v_mul_f32_dpp v168, v13, v168 row_newbcast:4 row_mask:0xf bank_mask:0xf// 00000000380C: 0B5150FA FF01540D
	v_mul_f32_dpp v169, v13, v169 row_newbcast:5 row_mask:0xf bank_mask:0xf// 000000003814: 0B5352FA FF01550D
	v_mul_f32_dpp v170, v13, v170 row_newbcast:6 row_mask:0xf bank_mask:0xf// 00000000381C: 0B5554FA FF01560D
	v_mul_f32_dpp v171, v13, v171 row_newbcast:7 row_mask:0xf bank_mask:0xf// 000000003824: 0B5756FA FF01570D
	v_mul_f32_dpp v172, v13, v172 row_newbcast:4 row_mask:0xf bank_mask:0xf// 00000000382C: 0B5958FA FF01540D
	v_mul_f32_dpp v173, v13, v173 row_newbcast:5 row_mask:0xf bank_mask:0xf// 000000003834: 0B5B5AFA FF01550D
	v_mul_f32_dpp v174, v13, v174 row_newbcast:6 row_mask:0xf bank_mask:0xf// 00000000383C: 0B5D5CFA FF01560D
	v_mul_f32_dpp v175, v13, v175 row_newbcast:7 row_mask:0xf bank_mask:0xf// 000000003844: 0B5F5EFA FF01570D
	v_mul_f32_dpp v176, v13, v176 row_newbcast:8 row_mask:0xf bank_mask:0xf// 00000000384C: 0B6160FA FF01580D
	v_mul_f32_dpp v177, v13, v177 row_newbcast:9 row_mask:0xf bank_mask:0xf// 000000003854: 0B6362FA FF01590D
	v_mul_f32_dpp v178, v13, v178 row_newbcast:10 row_mask:0xf bank_mask:0xf// 00000000385C: 0B6564FA FF015A0D
	v_mul_f32_dpp v179, v13, v179 row_newbcast:11 row_mask:0xf bank_mask:0xf// 000000003864: 0B6766FA FF015B0D
	v_mul_f32_dpp v180, v13, v180 row_newbcast:8 row_mask:0xf bank_mask:0xf// 00000000386C: 0B6968FA FF01580D
	v_mul_f32_dpp v181, v13, v181 row_newbcast:9 row_mask:0xf bank_mask:0xf// 000000003874: 0B6B6AFA FF01590D
	v_mul_f32_dpp v182, v13, v182 row_newbcast:10 row_mask:0xf bank_mask:0xf// 00000000387C: 0B6D6CFA FF015A0D
	v_mul_f32_dpp v183, v13, v183 row_newbcast:11 row_mask:0xf bank_mask:0xf// 000000003884: 0B6F6EFA FF015B0D
	v_mul_f32_dpp v184, v13, v184 row_newbcast:12 row_mask:0xf bank_mask:0xf// 00000000388C: 0B7170FA FF015C0D
	v_mul_f32_dpp v185, v13, v185 row_newbcast:13 row_mask:0xf bank_mask:0xf// 000000003894: 0B7372FA FF015D0D
	v_mul_f32_dpp v186, v13, v186 row_newbcast:14 row_mask:0xf bank_mask:0xf// 00000000389C: 0B7574FA FF015E0D
	v_mul_f32_dpp v187, v13, v187 row_newbcast:15 row_mask:0xf bank_mask:0xf// 0000000038A4: 0B7776FA FF015F0D
	v_mul_f32_dpp v188, v13, v188 row_newbcast:12 row_mask:0xf bank_mask:0xf// 0000000038AC: 0B7978FA FF015C0D
	v_mul_f32_dpp v189, v13, v189 row_newbcast:13 row_mask:0xf bank_mask:0xf// 0000000038B4: 0B7B7AFA FF015D0D
	v_mul_f32_dpp v190, v13, v190 row_newbcast:14 row_mask:0xf bank_mask:0xf// 0000000038BC: 0B7D7CFA FF015E0D
	v_mul_f32_dpp v191, v13, v191 row_newbcast:15 row_mask:0xf bank_mask:0xf// 0000000038C4: 0B7F7EFA FF015F0D
	v_mov_b32_e32 v42, 0x358637bd                              // 0000000038CC: 7E5402FF 358637BD
	v_mov_b32_e32 v43, 0x358637bd                              // 0000000038D4: 7E5602FF 358637BD
	v_max3_f32 v42, |v160|, |v161|, v42                        // 0000000038DC: D1D3032A 04AB43A0
	v_max3_f32 v42, |v162|, |v163|, v42                        // 0000000038E4: D1D3032A 04AB47A2
	v_max3_f32 v43, |v164|, |v165|, v43                        // 0000000038EC: D1D3032B 04AF4BA4
	v_max3_f32 v43, |v166|, |v167|, v43                        // 0000000038F4: D1D3032B 04AF4FA6
	v_max3_f32 v42, |v168|, |v169|, v42                        // 0000000038FC: D1D3032A 04AB53A8
	v_max3_f32 v42, |v170|, |v171|, v42                        // 000000003904: D1D3032A 04AB57AA
	v_max3_f32 v43, |v172|, |v173|, v43                        // 00000000390C: D1D3032B 04AF5BAC
	v_max3_f32 v43, |v174|, |v175|, v43                        // 000000003914: D1D3032B 04AF5FAE
	v_max3_f32 v42, |v176|, |v177|, v42                        // 00000000391C: D1D3032A 04AB63B0
	v_max3_f32 v42, |v178|, |v179|, v42                        // 000000003924: D1D3032A 04AB67B2
	v_max3_f32 v43, |v180|, |v181|, v43                        // 00000000392C: D1D3032B 04AF6BB4
	v_max3_f32 v43, |v182|, |v183|, v43                        // 000000003934: D1D3032B 04AF6FB6
	v_max3_f32 v42, |v184|, |v185|, v42                        // 00000000393C: D1D3032A 04AB73B8
	v_max3_f32 v42, |v186|, |v187|, v42                        // 000000003944: D1D3032A 04AB77BA
	v_max3_f32 v43, |v188|, |v189|, v43                        // 00000000394C: D1D3032B 04AF7BBC
	v_max3_f32 v43, |v190|, |v191|, v43                        // 000000003954: D1D3032B 04AF7FBE
	ds_write_b64 v3, v[42:43]                                  // 00000000395C: D89A0000 00002A03
	s_waitcnt lgkmcnt(0)                                       // 000000003964: BF8CC07F
	s_barrier                                                  // 000000003968: BF8A0000
	ds_read_b64 v[42:43], v4                                   // 00000000396C: D8EC0000 2A000004
	ds_read_b64 v[44:45], v4 offset:128                        // 000000003974: D8EC0080 2C000004
	ds_read_b64 v[46:47], v4 offset:256                        // 00000000397C: D8EC0100 2E000004
	ds_read_b64 v[48:49], v4 offset:384                        // 000000003984: D8EC0180 30000004
	ds_read_b64 v[50:51], v4 offset:512                        // 00000000398C: D8EC0200 32000004
	ds_read_b64 v[52:53], v4 offset:640                        // 000000003994: D8EC0280 34000004
	ds_read_b64 v[54:55], v4 offset:768                        // 00000000399C: D8EC0300 36000004
	ds_read_b64 v[56:57], v4 offset:896                        // 0000000039A4: D8EC0380 38000004
	s_waitcnt lgkmcnt(0)                                       // 0000000039AC: BF8CC07F
	v_mov_b32_e32 v20, 0x358637bd                              // 0000000039B0: 7E2802FF 358637BD
	v_mov_b32_e32 v21, 0x358637bd                              // 0000000039B8: 7E2A02FF 358637BD
	v_max3_f32 v20, |v42|, |v44|, v20                          // 0000000039C0: D1D30314 0452592A
	v_max3_f32 v21, |v43|, |v45|, v21                          // 0000000039C8: D1D30315 04565B2B
	v_max3_f32 v20, |v46|, |v48|, v20                          // 0000000039D0: D1D30314 0452612E
	v_max3_f32 v21, |v47|, |v49|, v21                          // 0000000039D8: D1D30315 0456632F
	v_max3_f32 v20, |v50|, |v52|, v20                          // 0000000039E0: D1D30314 04526932
	v_max3_f32 v21, |v51|, |v53|, v21                          // 0000000039E8: D1D30315 04566B33
	v_max3_f32 v20, |v54|, |v56|, v20                          // 0000000039F0: D1D30314 04527136
	v_max3_f32 v21, |v55|, |v57|, v21                          // 0000000039F8: D1D30315 04567337
	ds_read_b64 v[42:43], v4 offset:1024                       // 000000003A00: D8EC0400 2A000004
	ds_read_b64 v[44:45], v4 offset:1152                       // 000000003A08: D8EC0480 2C000004
	ds_read_b64 v[46:47], v4 offset:1280                       // 000000003A10: D8EC0500 2E000004
	ds_read_b64 v[48:49], v4 offset:1408                       // 000000003A18: D8EC0580 30000004
	ds_read_b64 v[50:51], v4 offset:1536                       // 000000003A20: D8EC0600 32000004
	ds_read_b64 v[52:53], v4 offset:1664                       // 000000003A28: D8EC0680 34000004
	ds_read_b64 v[54:55], v4 offset:1792                       // 000000003A30: D8EC0700 36000004
	ds_read_b64 v[56:57], v4 offset:1920                       // 000000003A38: D8EC0780 38000004
	s_waitcnt lgkmcnt(0)                                       // 000000003A40: BF8CC07F
	v_max3_f32 v20, |v42|, |v44|, v20                          // 000000003A44: D1D30314 0452592A
	v_max3_f32 v21, |v43|, |v45|, v21                          // 000000003A4C: D1D30315 04565B2B
	v_max3_f32 v20, |v46|, |v48|, v20                          // 000000003A54: D1D30314 0452612E
	v_max3_f32 v21, |v47|, |v49|, v21                          // 000000003A5C: D1D30315 0456632F
	v_max3_f32 v20, |v50|, |v52|, v20                          // 000000003A64: D1D30314 04526932
	v_max3_f32 v21, |v51|, |v53|, v21                          // 000000003A6C: D1D30315 04566B33
	v_max3_f32 v20, |v54|, |v56|, v20                          // 000000003A74: D1D30314 04527136
	v_max3_f32 v21, |v55|, |v57|, v21                          // 000000003A7C: D1D30315 04567337
	v_mov_b32_e32 v38, 0x42fe0000                              // 000000003A84: 7E4C02FF 42FE0000
	v_rcp_f32_e32 v20, v20                                     // 000000003A8C: 7E284514
	v_rcp_f32_e32 v21, v21                                     // 000000003A90: 7E2A4515
	s_nop 1                                                    // 000000003A94: BF800001
	v_mul_f32_e32 v20, v38, v20                                // 000000003A98: 0A282926
	v_mul_f32_e32 v21, v38, v21                                // 000000003A9C: 0A2A2B26
	v_rcp_f32_e32 v22, v20                                     // 000000003AA0: 7E2C4514
	v_rcp_f32_e32 v23, v21                                     // 000000003AA4: 7E2E4515
	v_mov_b32_e32 v38, v20                                     // 000000003AA8: 7E4C0314
	v_mov_b32_e32 v39, v20                                     // 000000003AAC: 7E4E0314
	v_mov_b32_e32 v40, v21                                     // 000000003AB0: 7E500315
	v_mov_b32_e32 v41, v21                                     // 000000003AB4: 7E520315
	v_pk_mul_f32 v[160:161], v[38:39], v[160:161]              // 000000003AB8: D3B140A0 18034126
	v_pk_mul_f32 v[162:163], v[38:39], v[162:163]              // 000000003AC0: D3B140A2 18034526
	v_cvt_i32_f32_e32 v160, v160                               // 000000003AC8: 7F4011A0
	v_cvt_i32_f32_e32 v161, v161                               // 000000003ACC: 7F4211A1
	v_cvt_i32_f32_e32 v162, v162                               // 000000003AD0: 7F4411A2
	v_cvt_i32_f32_e32 v163, v163                               // 000000003AD4: 7F4611A3
	v_perm_b32 v160, v161, v160, s53                           // 000000003AD8: D1ED00A0 00D741A1
	v_perm_b32 v160, v162, v160, s54                           // 000000003AE0: D1ED00A0 00DB41A2
	v_perm_b32 v160, v163, v160, s55                           // 000000003AE8: D1ED00A0 00DF41A3
	v_pk_mul_f32 v[164:165], v[40:41], v[164:165]              // 000000003AF0: D3B140A4 18034928
	v_pk_mul_f32 v[166:167], v[40:41], v[166:167]              // 000000003AF8: D3B140A6 18034D28
	v_cvt_i32_f32_e32 v164, v164                               // 000000003B00: 7F4811A4
	v_cvt_i32_f32_e32 v165, v165                               // 000000003B04: 7F4A11A5
	v_cvt_i32_f32_e32 v166, v166                               // 000000003B08: 7F4C11A6
	v_cvt_i32_f32_e32 v167, v167                               // 000000003B0C: 7F4E11A7
	v_perm_b32 v161, v165, v164, s53                           // 000000003B10: D1ED00A1 00D749A5
	v_perm_b32 v161, v166, v161, s54                           // 000000003B18: D1ED00A1 00DB43A6
	v_perm_b32 v161, v167, v161, s55                           // 000000003B20: D1ED00A1 00DF43A7
	v_pk_mul_f32 v[168:169], v[38:39], v[168:169]              // 000000003B28: D3B140A8 18035126
	v_pk_mul_f32 v[170:171], v[38:39], v[170:171]              // 000000003B30: D3B140AA 18035526
	v_cvt_i32_f32_e32 v168, v168                               // 000000003B38: 7F5011A8
	v_cvt_i32_f32_e32 v169, v169                               // 000000003B3C: 7F5211A9
	v_cvt_i32_f32_e32 v170, v170                               // 000000003B40: 7F5411AA
	v_cvt_i32_f32_e32 v171, v171                               // 000000003B44: 7F5611AB
	v_perm_b32 v162, v169, v168, s53                           // 000000003B48: D1ED00A2 00D751A9
	v_perm_b32 v162, v170, v162, s54                           // 000000003B50: D1ED00A2 00DB45AA
	v_perm_b32 v162, v171, v162, s55                           // 000000003B58: D1ED00A2 00DF45AB
	v_pk_mul_f32 v[172:173], v[40:41], v[172:173]              // 000000003B60: D3B140AC 18035928
	v_pk_mul_f32 v[174:175], v[40:41], v[174:175]              // 000000003B68: D3B140AE 18035D28
	v_cvt_i32_f32_e32 v172, v172                               // 000000003B70: 7F5811AC
	v_cvt_i32_f32_e32 v173, v173                               // 000000003B74: 7F5A11AD
	v_cvt_i32_f32_e32 v174, v174                               // 000000003B78: 7F5C11AE
	v_cvt_i32_f32_e32 v175, v175                               // 000000003B7C: 7F5E11AF
	v_perm_b32 v163, v173, v172, s53                           // 000000003B80: D1ED00A3 00D759AD
	v_perm_b32 v163, v174, v163, s54                           // 000000003B88: D1ED00A3 00DB47AE
	v_perm_b32 v163, v175, v163, s55                           // 000000003B90: D1ED00A3 00DF47AF
	v_pk_mul_f32 v[176:177], v[38:39], v[176:177]              // 000000003B98: D3B140B0 18036126
	v_pk_mul_f32 v[178:179], v[38:39], v[178:179]              // 000000003BA0: D3B140B2 18036526
	v_cvt_i32_f32_e32 v176, v176                               // 000000003BA8: 7F6011B0
	v_cvt_i32_f32_e32 v177, v177                               // 000000003BAC: 7F6211B1
	v_cvt_i32_f32_e32 v178, v178                               // 000000003BB0: 7F6411B2
	v_cvt_i32_f32_e32 v179, v179                               // 000000003BB4: 7F6611B3
	v_perm_b32 v164, v177, v176, s53                           // 000000003BB8: D1ED00A4 00D761B1
	v_perm_b32 v164, v178, v164, s54                           // 000000003BC0: D1ED00A4 00DB49B2
	v_perm_b32 v164, v179, v164, s55                           // 000000003BC8: D1ED00A4 00DF49B3
	v_pk_mul_f32 v[180:181], v[40:41], v[180:181]              // 000000003BD0: D3B140B4 18036928
	v_pk_mul_f32 v[182:183], v[40:41], v[182:183]              // 000000003BD8: D3B140B6 18036D28
	v_cvt_i32_f32_e32 v180, v180                               // 000000003BE0: 7F6811B4
	v_cvt_i32_f32_e32 v181, v181                               // 000000003BE4: 7F6A11B5
	v_cvt_i32_f32_e32 v182, v182                               // 000000003BE8: 7F6C11B6
	v_cvt_i32_f32_e32 v183, v183                               // 000000003BEC: 7F6E11B7
	v_perm_b32 v165, v181, v180, s53                           // 000000003BF0: D1ED00A5 00D769B5
	v_perm_b32 v165, v182, v165, s54                           // 000000003BF8: D1ED00A5 00DB4BB6
	v_perm_b32 v165, v183, v165, s55                           // 000000003C00: D1ED00A5 00DF4BB7
	v_pk_mul_f32 v[184:185], v[38:39], v[184:185]              // 000000003C08: D3B140B8 18037126
	v_pk_mul_f32 v[186:187], v[38:39], v[186:187]              // 000000003C10: D3B140BA 18037526
	v_cvt_i32_f32_e32 v184, v184                               // 000000003C18: 7F7011B8
	v_cvt_i32_f32_e32 v185, v185                               // 000000003C1C: 7F7211B9
	v_cvt_i32_f32_e32 v186, v186                               // 000000003C20: 7F7411BA
	v_cvt_i32_f32_e32 v187, v187                               // 000000003C24: 7F7611BB
	v_perm_b32 v166, v185, v184, s53                           // 000000003C28: D1ED00A6 00D771B9
	v_perm_b32 v166, v186, v166, s54                           // 000000003C30: D1ED00A6 00DB4DBA
	v_perm_b32 v166, v187, v166, s55                           // 000000003C38: D1ED00A6 00DF4DBB
	v_pk_mul_f32 v[188:189], v[40:41], v[188:189]              // 000000003C40: D3B140BC 18037928
	v_pk_mul_f32 v[190:191], v[40:41], v[190:191]              // 000000003C48: D3B140BE 18037D28
	v_cvt_i32_f32_e32 v188, v188                               // 000000003C50: 7F7811BC
	v_cvt_i32_f32_e32 v189, v189                               // 000000003C54: 7F7A11BD
	v_cvt_i32_f32_e32 v190, v190                               // 000000003C58: 7F7C11BE
	v_cvt_i32_f32_e32 v191, v191                               // 000000003C5C: 7F7E11BF
	v_perm_b32 v167, v189, v188, s53                           // 000000003C60: D1ED00A7 00D779BD
	v_perm_b32 v167, v190, v167, s54                           // 000000003C68: D1ED00A7 00DB4FBE
	v_perm_b32 v167, v191, v167, s55                           // 000000003C70: D1ED00A7 00DF4FBF
	ds_write_b32 v11, v160 offset:2048                         // 000000003C78: D81A0800 0000A00B
	ds_write_b32 v11, v161 offset:6144                         // 000000003C80: D81A1800 0000A10B
	ds_write_b32 v11, v162 offset:3072                         // 000000003C88: D81A0C00 0000A20B
	ds_write_b32 v11, v163 offset:7168                         // 000000003C90: D81A1C00 0000A30B
	ds_write_b32 v11, v164 offset:4096                         // 000000003C98: D81A1000 0000A40B
	ds_write_b32 v11, v165 offset:8192                         // 000000003CA0: D81A2000 0000A50B
	ds_write_b32 v11, v166 offset:5120                         // 000000003CA8: D81A1400 0000A60B
	ds_write_b32 v11, v167 offset:9216                         // 000000003CB0: D81A2400 0000A70B
	s_waitcnt lgkmcnt(0)                                       // 000000003CB8: BF8CC07F
	s_barrier                                                  // 000000003CBC: BF8A0000
	ds_read_b64 v[160:161], v12 offset:2048                    // 000000003CC0: D8EC0800 A000000C
	ds_read_b64 v[162:163], v12 offset:2176                    // 000000003CC8: D8EC0880 A200000C
	ds_read_b64 v[164:165], v12 offset:3072                    // 000000003CD0: D8EC0C00 A400000C
	ds_read_b64 v[166:167], v12 offset:3200                    // 000000003CD8: D8EC0C80 A600000C
	ds_read_b64 v[168:169], v12 offset:4096                    // 000000003CE0: D8EC1000 A800000C
	ds_read_b64 v[170:171], v12 offset:4224                    // 000000003CE8: D8EC1080 AA00000C
	ds_read_b64 v[172:173], v12 offset:5120                    // 000000003CF0: D8EC1400 AC00000C
	ds_read_b64 v[174:175], v12 offset:5248                    // 000000003CF8: D8EC1480 AE00000C
	ds_read_b64 v[176:177], v12 offset:6144                    // 000000003D00: D8EC1800 B000000C
	ds_read_b64 v[178:179], v12 offset:6272                    // 000000003D08: D8EC1880 B200000C
	ds_read_b64 v[180:181], v12 offset:7168                    // 000000003D10: D8EC1C00 B400000C
	ds_read_b64 v[182:183], v12 offset:7296                    // 000000003D18: D8EC1C80 B600000C
	ds_read_b64 v[184:185], v12 offset:8192                    // 000000003D20: D8EC2000 B800000C
	ds_read_b64 v[186:187], v12 offset:8320                    // 000000003D28: D8EC2080 BA00000C
	ds_read_b64 v[188:189], v12 offset:9216                    // 000000003D30: D8EC2400 BC00000C
	ds_read_b64 v[190:191], v12 offset:9344                    // 000000003D38: D8EC2480 BE00000C
	s_cmp_lt_i32 s5, 2                                         // 000000003D40: BF048205
	s_cbranch_scc0 label_12D3                                  // 000000003D44: BF840F01

0000000000003d48 <label_03D2>:
	v_mov_b32_e32 v232, v22                                    // 000000003D48: 7FD00316
	v_mov_b32_e32 v234, v23                                    // 000000003D4C: 7FD40317
	v_mov_b32_e32 v233, v232                                   // 000000003D50: 7FD203E8
	v_mov_b32_e32 v235, v234                                   // 000000003D54: 7FD603EA
	s_waitcnt vmcnt(8) lgkmcnt(0)                              // 000000003D58: BF8C0078
	s_barrier                                                  // 000000003D5C: BF8A0000
	v_mfma_i32_16x16x32_i8 v[224:227], a[0:1], v[160:161], 0   // 000000003D60: D3D700E0 0A034100
	v_mfma_i32_16x16x32_i8 v[224:227], a[2:3], v[162:163], v[224:227]// 000000003D68: D3D700E0 0F834502
	buffer_load_dwordx4 a[64:67], v34, s[92:95], 0 offen       // 000000003D70: E05C1000 80974022
	v_mfma_i32_16x16x32_i8 v[224:227], a[4:5], v[164:165], v[224:227]// 000000003D78: D3D700E0 0F834904
	v_mfma_i32_16x16x32_i8 v[224:227], a[6:7], v[166:167], v[224:227]// 000000003D80: D3D700E0 0F834D06
	buffer_load_dword v26, s[20:23], 0 offen lds               // 000000003D88: E0511000 8005001A
	buffer_load_dword v26, s[20:23], 0 offen offset:256 lds    // 000000003D90: E0511100 8005001A
	s_add_u32 m0, 0x820, s51                                   // 000000003D98: 807C33FF 00000820
	v_mfma_i32_16x16x32_i8 v[224:227], a[8:9], v[168:169], v[224:227]// 000000003DA0: D3D700E0 0F835108
	v_mfma_i32_16x16x32_i8 v[224:227], a[10:11], v[170:171], v[224:227]// 000000003DA8: D3D700E0 0F83550A
	buffer_load_dwordx4 a[68:71], v34, s[92:95], 0 offen offset:1024// 000000003DB0: E05C1400 80974422
	v_mfma_i32_16x16x32_i8 v[224:227], a[12:13], v[172:173], v[224:227]// 000000003DB8: D3D700E0 0F83590C
	v_mfma_i32_16x16x32_i8 v[224:227], a[14:15], v[174:175], v[224:227]// 000000003DC0: D3D700E0 0F835D0E
	buffer_load_dword v27, s[20:23], 0 offen lds               // 000000003DC8: E0511000 8005001B
	buffer_load_dword v27, s[20:23], 0 offen offset:256 lds    // 000000003DD0: E0511100 8005001B
	s_add_u32 m0, 0x1040, s51                                  // 000000003DD8: 807C33FF 00001040
	v_mfma_i32_16x16x32_i8 v[228:231], a[0:1], v[176:177], 0   // 000000003DE0: D3D700E4 0A036100
	v_mfma_i32_16x16x32_i8 v[228:231], a[2:3], v[178:179], v[228:231]// 000000003DE8: D3D700E4 0F936502
	buffer_load_dwordx4 a[72:75], v34, s[92:95], 0 offen offset:2048// 000000003DF0: E05C1800 80974822
	v_mfma_i32_16x16x32_i8 v[228:231], a[4:5], v[180:181], v[228:231]// 000000003DF8: D3D700E4 0F936904
	v_mfma_i32_16x16x32_i8 v[228:231], a[6:7], v[182:183], v[228:231]// 000000003E00: D3D700E4 0F936D06
	buffer_load_dword v28, s[20:23], 0 offen lds               // 000000003E08: E0511000 8005001C
	buffer_load_dword v28, s[20:23], 0 offen offset:256 lds    // 000000003E10: E0511100 8005001C
	s_add_u32 m0, 0x1860, s51                                  // 000000003E18: 807C33FF 00001860
	v_mfma_i32_16x16x32_i8 v[228:231], a[8:9], v[184:185], v[228:231]// 000000003E20: D3D700E4 0F937108
	v_mfma_i32_16x16x32_i8 v[228:231], a[10:11], v[186:187], v[228:231]// 000000003E28: D3D700E4 0F93750A
	buffer_load_dwordx4 a[76:79], v34, s[92:95], 0 offen offset:3072// 000000003E30: E05C1C00 80974C22
	v_mfma_i32_16x16x32_i8 v[228:231], a[12:13], v[188:189], v[228:231]// 000000003E38: D3D700E4 0F93790C
	v_mfma_i32_16x16x32_i8 v[228:231], a[14:15], v[190:191], v[228:231]// 000000003E40: D3D700E4 0F937D0E
	buffer_load_dword v29, s[20:23], 0 offen lds               // 000000003E48: E0511000 8005001D
	buffer_load_dword v29, s[20:23], 0 offen offset:256 lds    // 000000003E50: E0511100 8005001D
	s_add_u32 m0, 0x2080, s51                                  // 000000003E58: 807C33FF 00002080
	v_cvt_f32_i32_e32 v224, v224                               // 000000003E60: 7FC00BE0
	v_cvt_f32_i32_e32 v225, v225                               // 000000003E64: 7FC20BE1
	v_cvt_f32_i32_e32 v226, v226                               // 000000003E68: 7FC40BE2
	v_cvt_f32_i32_e32 v227, v227                               // 000000003E6C: 7FC60BE3
	v_pk_fma_f32 v[128:129], v[224:225], v[232:233], v[128:129]// 000000003E70: D3B04080 1E03D1E0
	v_pk_fma_f32 v[130:131], v[226:227], v[232:233], v[130:131]// 000000003E78: D3B04082 1E0BD1E2
	v_mfma_i32_16x16x32_i8 v[224:227], a[16:17], v[160:161], 0 // 000000003E80: D3D700E0 0A034110
	v_mfma_i32_16x16x32_i8 v[224:227], a[18:19], v[162:163], v[224:227]// 000000003E88: D3D700E0 0F834512
	buffer_load_dwordx4 a[80:83], v35, s[92:95], 0 offen       // 000000003E90: E05C1000 80975023
	v_mfma_i32_16x16x32_i8 v[224:227], a[20:21], v[164:165], v[224:227]// 000000003E98: D3D700E0 0F834914
	v_mfma_i32_16x16x32_i8 v[224:227], a[22:23], v[166:167], v[224:227]// 000000003EA0: D3D700E0 0F834D16
	buffer_load_dword v30, s[20:23], 0 offen lds               // 000000003EA8: E0511000 8005001E
	buffer_load_dword v30, s[20:23], 0 offen offset:256 lds    // 000000003EB0: E0511100 8005001E
	s_add_u32 m0, 0x28a0, s51                                  // 000000003EB8: 807C33FF 000028A0
	v_mfma_i32_16x16x32_i8 v[224:227], a[24:25], v[168:169], v[224:227]// 000000003EC0: D3D700E0 0F835118
	v_mfma_i32_16x16x32_i8 v[224:227], a[26:27], v[170:171], v[224:227]// 000000003EC8: D3D700E0 0F83551A
	buffer_load_dwordx4 a[84:87], v35, s[92:95], 0 offen offset:1024// 000000003ED0: E05C1400 80975423
	v_mfma_i32_16x16x32_i8 v[224:227], a[28:29], v[172:173], v[224:227]// 000000003ED8: D3D700E0 0F83591C
	v_mfma_i32_16x16x32_i8 v[224:227], a[30:31], v[174:175], v[224:227]// 000000003EE0: D3D700E0 0F835D1E
	buffer_load_dword v31, s[20:23], 0 offen lds               // 000000003EE8: E0511000 8005001F
	buffer_load_dword v31, s[20:23], 0 offen offset:256 lds    // 000000003EF0: E0511100 8005001F
	s_add_u32 m0, 0x30c0, s51                                  // 000000003EF8: 807C33FF 000030C0
	v_cvt_f32_i32_e32 v228, v228                               // 000000003F00: 7FC80BE4
	v_cvt_f32_i32_e32 v229, v229                               // 000000003F04: 7FCA0BE5
	v_cvt_f32_i32_e32 v230, v230                               // 000000003F08: 7FCC0BE6
	v_cvt_f32_i32_e32 v231, v231                               // 000000003F0C: 7FCE0BE7
	v_pk_fma_f32 v[132:133], v[228:229], v[234:235], v[132:133]// 000000003F10: D3B04084 1E13D5E4
	v_pk_fma_f32 v[134:135], v[230:231], v[234:235], v[134:135]// 000000003F18: D3B04086 1E1BD5E6
	v_mfma_i32_16x16x32_i8 v[228:231], a[16:17], v[176:177], 0 // 000000003F20: D3D700E4 0A036110
	v_mfma_i32_16x16x32_i8 v[228:231], a[18:19], v[178:179], v[228:231]// 000000003F28: D3D700E4 0F936512
	buffer_load_dwordx4 a[88:91], v35, s[92:95], 0 offen offset:2048// 000000003F30: E05C1800 80975823
	v_mfma_i32_16x16x32_i8 v[228:231], a[20:21], v[180:181], v[228:231]// 000000003F38: D3D700E4 0F936914
	v_mfma_i32_16x16x32_i8 v[228:231], a[22:23], v[182:183], v[228:231]// 000000003F40: D3D700E4 0F936D16
	buffer_load_dword v32, s[20:23], 0 offen lds               // 000000003F48: E0511000 80050020
	buffer_load_dword v32, s[20:23], 0 offen offset:256 lds    // 000000003F50: E0511100 80050020
	s_add_u32 m0, 0x38e0, s51                                  // 000000003F58: 807C33FF 000038E0
	v_mfma_i32_16x16x32_i8 v[228:231], a[24:25], v[184:185], v[228:231]// 000000003F60: D3D700E4 0F937118
	v_mfma_i32_16x16x32_i8 v[228:231], a[26:27], v[186:187], v[228:231]// 000000003F68: D3D700E4 0F93751A
	buffer_load_dwordx4 a[92:95], v35, s[92:95], 0 offen offset:3072// 000000003F70: E05C1C00 80975C23
	v_mfma_i32_16x16x32_i8 v[228:231], a[28:29], v[188:189], v[228:231]// 000000003F78: D3D700E4 0F93791C
	v_mfma_i32_16x16x32_i8 v[228:231], a[30:31], v[190:191], v[228:231]// 000000003F80: D3D700E4 0F937D1E
	buffer_load_dword v33, s[20:23], 0 offen lds               // 000000003F88: E0511000 80050021
	buffer_load_dword v33, s[20:23], 0 offen offset:256 lds    // 000000003F90: E0511100 80050021
	s_add_u32 m0, 0, s50                                       // 000000003F98: 807C3280
	buffer_load_dword v14, v6, s[28:31], 0 offen               // 000000003F9C: E0501000 80070E06
	v_cvt_f32_i32_e32 v224, v224                               // 000000003FA4: 7FC00BE0
	v_cvt_f32_i32_e32 v225, v225                               // 000000003FA8: 7FC20BE1
	v_cvt_f32_i32_e32 v226, v226                               // 000000003FAC: 7FC40BE2
	v_cvt_f32_i32_e32 v227, v227                               // 000000003FB0: 7FC60BE3
	v_pk_fma_f32 v[136:137], v[224:225], v[232:233], v[136:137]// 000000003FB4: D3B04088 1E23D1E0
	v_pk_fma_f32 v[138:139], v[226:227], v[232:233], v[138:139]// 000000003FBC: D3B0408A 1E2BD1E2
	s_waitcnt vmcnt(29)                                        // 000000003FC4: BF8C4F7D
	v_mfma_i32_16x16x32_i8 v[224:227], a[32:33], v[160:161], 0 // 000000003FC8: D3D700E0 0A034120
	v_mfma_i32_16x16x32_i8 v[224:227], a[34:35], v[162:163], v[224:227]// 000000003FD0: D3D700E0 0F834522
	buffer_load_dwordx4 a[96:99], v36, s[92:95], 0 offen       // 000000003FD8: E05C1000 80976024
	v_mfma_i32_16x16x32_i8 v[224:227], a[36:37], v[164:165], v[224:227]// 000000003FE0: D3D700E0 0F834924
	v_mfma_i32_16x16x32_i8 v[224:227], a[38:39], v[166:167], v[224:227]// 000000003FE8: D3D700E0 0F834D26
	v_mfma_i32_16x16x32_i8 v[224:227], a[40:41], v[168:169], v[224:227]// 000000003FF0: D3D700E0 0F835128
	v_mfma_i32_16x16x32_i8 v[224:227], a[42:43], v[170:171], v[224:227]// 000000003FF8: D3D700E0 0F83552A
	buffer_load_dwordx4 a[100:103], v36, s[92:95], 0 offen offset:1024// 000000004000: E05C1400 80976424
	v_mfma_i32_16x16x32_i8 v[224:227], a[44:45], v[172:173], v[224:227]// 000000004008: D3D700E0 0F83592C
	v_mfma_i32_16x16x32_i8 v[224:227], a[46:47], v[174:175], v[224:227]// 000000004010: D3D700E0 0F835D2E
	v_cvt_f32_i32_e32 v228, v228                               // 000000004018: 7FC80BE4
	v_cvt_f32_i32_e32 v229, v229                               // 00000000401C: 7FCA0BE5
	v_cvt_f32_i32_e32 v230, v230                               // 000000004020: 7FCC0BE6
	v_cvt_f32_i32_e32 v231, v231                               // 000000004024: 7FCE0BE7
	v_pk_fma_f32 v[140:141], v[228:229], v[234:235], v[140:141]// 000000004028: D3B0408C 1E33D5E4
	v_pk_fma_f32 v[142:143], v[230:231], v[234:235], v[142:143]// 000000004030: D3B0408E 1E3BD5E6
	v_mfma_i32_16x16x32_i8 v[228:231], a[32:33], v[176:177], 0 // 000000004038: D3D700E4 0A036120
	v_mfma_i32_16x16x32_i8 v[228:231], a[34:35], v[178:179], v[228:231]// 000000004040: D3D700E4 0F936522
	buffer_load_dwordx4 a[104:107], v36, s[92:95], 0 offen offset:2048// 000000004048: E05C1800 80976824
	v_mfma_i32_16x16x32_i8 v[228:231], a[36:37], v[180:181], v[228:231]// 000000004050: D3D700E4 0F936924
	v_mfma_i32_16x16x32_i8 v[228:231], a[38:39], v[182:183], v[228:231]// 000000004058: D3D700E4 0F936D26
	v_mfma_i32_16x16x32_i8 v[228:231], a[40:41], v[184:185], v[228:231]// 000000004060: D3D700E4 0F937128
	v_mfma_i32_16x16x32_i8 v[228:231], a[42:43], v[186:187], v[228:231]// 000000004068: D3D700E4 0F93752A
	buffer_load_dwordx4 a[108:111], v36, s[92:95], 0 offen offset:3072// 000000004070: E05C1C00 80976C24
	v_mfma_i32_16x16x32_i8 v[228:231], a[44:45], v[188:189], v[228:231]// 000000004078: D3D700E4 0F93792C
	v_mfma_i32_16x16x32_i8 v[228:231], a[46:47], v[190:191], v[228:231]// 000000004080: D3D700E4 0F937D2E
	v_cvt_f32_i32_e32 v224, v224                               // 000000004088: 7FC00BE0
	v_cvt_f32_i32_e32 v225, v225                               // 00000000408C: 7FC20BE1
	v_cvt_f32_i32_e32 v226, v226                               // 000000004090: 7FC40BE2
	v_cvt_f32_i32_e32 v227, v227                               // 000000004094: 7FC60BE3
	v_pk_fma_f32 v[144:145], v[224:225], v[232:233], v[144:145]// 000000004098: D3B04090 1E43D1E0
	v_pk_fma_f32 v[146:147], v[226:227], v[232:233], v[146:147]// 0000000040A0: D3B04092 1E4BD1E2
	s_waitcnt vmcnt(29)                                        // 0000000040A8: BF8C4F7D
	v_mfma_i32_16x16x32_i8 v[224:227], a[48:49], v[160:161], 0 // 0000000040AC: D3D700E0 0A034130
	v_mfma_i32_16x16x32_i8 v[224:227], a[50:51], v[162:163], v[224:227]// 0000000040B4: D3D700E0 0F834532
	buffer_load_dwordx4 a[112:115], v37, s[92:95], 0 offen     // 0000000040BC: E05C1000 80977025
	v_mfma_i32_16x16x32_i8 v[224:227], a[52:53], v[164:165], v[224:227]// 0000000040C4: D3D700E0 0F834934
	v_mfma_i32_16x16x32_i8 v[224:227], a[54:55], v[166:167], v[224:227]// 0000000040CC: D3D700E0 0F834D36
	v_mfma_i32_16x16x32_i8 v[224:227], a[56:57], v[168:169], v[224:227]// 0000000040D4: D3D700E0 0F835138
	v_mfma_i32_16x16x32_i8 v[224:227], a[58:59], v[170:171], v[224:227]// 0000000040DC: D3D700E0 0F83553A
	buffer_load_dwordx4 a[116:119], v37, s[92:95], 0 offen offset:1024// 0000000040E4: E05C1400 80977425
	v_mfma_i32_16x16x32_i8 v[224:227], a[60:61], v[172:173], v[224:227]// 0000000040EC: D3D700E0 0F83593C
	v_mfma_i32_16x16x32_i8 v[224:227], a[62:63], v[174:175], v[224:227]// 0000000040F4: D3D700E0 0F835D3E
	v_cvt_f32_i32_e32 v228, v228                               // 0000000040FC: 7FC80BE4
	v_cvt_f32_i32_e32 v229, v229                               // 000000004100: 7FCA0BE5
	v_cvt_f32_i32_e32 v230, v230                               // 000000004104: 7FCC0BE6
	v_cvt_f32_i32_e32 v231, v231                               // 000000004108: 7FCE0BE7
	v_pk_fma_f32 v[148:149], v[228:229], v[234:235], v[148:149]// 00000000410C: D3B04094 1E53D5E4
	v_pk_fma_f32 v[150:151], v[230:231], v[234:235], v[150:151]// 000000004114: D3B04096 1E5BD5E6
	v_mfma_i32_16x16x32_i8 v[228:231], a[48:49], v[176:177], 0 // 00000000411C: D3D700E4 0A036130
	v_mfma_i32_16x16x32_i8 v[228:231], a[50:51], v[178:179], v[228:231]// 000000004124: D3D700E4 0F936532
	buffer_load_dwordx4 a[120:123], v37, s[92:95], 0 offen offset:2048// 00000000412C: E05C1800 80977825
	v_mfma_i32_16x16x32_i8 v[228:231], a[52:53], v[180:181], v[228:231]// 000000004134: D3D700E4 0F936934
	v_mfma_i32_16x16x32_i8 v[228:231], a[54:55], v[182:183], v[228:231]// 00000000413C: D3D700E4 0F936D36
	v_mfma_i32_16x16x32_i8 v[228:231], a[56:57], v[184:185], v[228:231]// 000000004144: D3D700E4 0F937138
	v_mfma_i32_16x16x32_i8 v[228:231], a[58:59], v[186:187], v[228:231]// 00000000414C: D3D700E4 0F93753A
	buffer_load_dwordx4 a[124:127], v37, s[92:95], 0 offen offset:3072// 000000004154: E05C1C00 80977C25
	v_mfma_i32_16x16x32_i8 v[228:231], a[60:61], v[188:189], v[228:231]// 00000000415C: D3D700E4 0F93793C
	v_mfma_i32_16x16x32_i8 v[228:231], a[62:63], v[190:191], v[228:231]// 000000004164: D3D700E4 0F937D3E
	v_cvt_f32_i32_e32 v224, v224                               // 00000000416C: 7FC00BE0
	v_cvt_f32_i32_e32 v225, v225                               // 000000004170: 7FC20BE1
	v_cvt_f32_i32_e32 v226, v226                               // 000000004174: 7FC40BE2
	v_cvt_f32_i32_e32 v227, v227                               // 000000004178: 7FC60BE3
	v_pk_fma_f32 v[152:153], v[224:225], v[232:233], v[152:153]// 00000000417C: D3B04098 1E63D1E0
	v_pk_fma_f32 v[154:155], v[226:227], v[232:233], v[154:155]// 000000004184: D3B0409A 1E6BD1E2
	v_cvt_f32_i32_e32 v228, v228                               // 00000000418C: 7FC80BE4
	v_cvt_f32_i32_e32 v229, v229                               // 000000004190: 7FCA0BE5
	v_cvt_f32_i32_e32 v230, v230                               // 000000004194: 7FCC0BE6
	v_cvt_f32_i32_e32 v231, v231                               // 000000004198: 7FCE0BE7
	v_pk_fma_f32 v[156:157], v[228:229], v[234:235], v[156:157]// 00000000419C: D3B0409C 1E73D5E4
	v_pk_fma_f32 v[158:159], v[230:231], v[234:235], v[158:159]// 0000000041A4: D3B0409E 1E7BD5E6
	s_waitcnt vmcnt(8)                                         // 0000000041AC: BF8C0F78
	s_barrier                                                  // 0000000041B0: BF8A0000
	v_mfma_i32_16x16x32_i8 v[224:227], a[64:65], v[160:161], 0 // 0000000041B4: D3D700E0 0A034140
	ds_read_b64 v[192:193], v2 offset:18688                    // 0000000041BC: D8EC4900 C0000002
	ds_read_b64 v[196:197], v2 offset:27008                    // 0000000041C4: D8EC6980 C4000002
	v_mfma_i32_16x16x32_i8 v[224:227], a[66:67], v[162:163], v[224:227]// 0000000041CC: D3D700E0 0F834542
	buffer_load_dwordx4 a[0:3], v34, s[24:27], 0 offen         // 0000000041D4: E05C1000 80860022
	v_mfma_i32_16x16x32_i8 v[224:227], a[68:69], v[164:165], v[224:227]// 0000000041DC: D3D700E0 0F834944
	ds_read_b64 v[200:201], v2 offset:18816                    // 0000000041E4: D8EC4980 C8000002
	ds_read_b64 v[204:205], v2 offset:27136                    // 0000000041EC: D8EC6A00 CC000002
	v_mfma_i32_16x16x32_i8 v[224:227], a[70:71], v[166:167], v[224:227]// 0000000041F4: D3D700E0 0F834D46
	v_mfma_i32_16x16x32_i8 v[224:227], a[72:73], v[168:169], v[224:227]// 0000000041FC: D3D700E0 0F835148
	ds_read_b64 v[208:209], v2 offset:18944                    // 000000004204: D8EC4A00 D0000002
	ds_read_b64 v[212:213], v2 offset:27264                    // 00000000420C: D8EC6A80 D4000002
	v_mfma_i32_16x16x32_i8 v[224:227], a[74:75], v[170:171], v[224:227]// 000000004214: D3D700E0 0F83554A
	buffer_load_dwordx4 a[4:7], v34, s[24:27], 0 offen offset:1024// 00000000421C: E05C1400 80860422
	v_mfma_i32_16x16x32_i8 v[224:227], a[76:77], v[172:173], v[224:227]// 000000004224: D3D700E0 0F83594C
	ds_read_b64 v[216:217], v2 offset:19072                    // 00000000422C: D8EC4A80 D8000002
	ds_read_b64 v[220:221], v2 offset:27392                    // 000000004234: D8EC6B00 DC000002
	v_mfma_i32_16x16x32_i8 v[224:227], a[78:79], v[174:175], v[224:227]// 00000000423C: D3D700E0 0F835D4E
	s_waitcnt lgkmcnt(4)                                       // 000000004244: BF8CC47F
	v_and_b32_e32 v195, 0xffff0000, v193                       // 000000004248: 278782FF FFFF0000
	v_lshlrev_b32_e32 v194, 16, v193                           // 000000004250: 25858290
	v_and_b32_e32 v193, 0xffff0000, v192                       // 000000004254: 278380FF FFFF0000
	v_lshlrev_b32_e32 v192, 16, v192                           // 00000000425C: 25818090
	v_and_b32_e32 v199, 0xffff0000, v197                       // 000000004260: 278F8AFF FFFF0000
	v_lshlrev_b32_e32 v198, 16, v197                           // 000000004268: 258D8A90
	v_and_b32_e32 v197, 0xffff0000, v196                       // 00000000426C: 278B88FF FFFF0000
	v_lshlrev_b32_e32 v196, 16, v196                           // 000000004274: 25898890
	v_and_b32_e32 v203, 0xffff0000, v201                       // 000000004278: 279792FF FFFF0000
	v_lshlrev_b32_e32 v202, 16, v201                           // 000000004280: 25959290
	v_and_b32_e32 v201, 0xffff0000, v200                       // 000000004284: 279390FF FFFF0000
	v_lshlrev_b32_e32 v200, 16, v200                           // 00000000428C: 25919090
	v_and_b32_e32 v207, 0xffff0000, v205                       // 000000004290: 279F9AFF FFFF0000
	v_lshlrev_b32_e32 v206, 16, v205                           // 000000004298: 259D9A90
	v_and_b32_e32 v205, 0xffff0000, v204                       // 00000000429C: 279B98FF FFFF0000
	v_lshlrev_b32_e32 v204, 16, v204                           // 0000000042A4: 25999890
	v_mul_f32_dpp v192, v14, v192 row_newbcast:0 row_mask:0xf bank_mask:0xf// 0000000042A8: 0B8180FA FF01500E
	v_mul_f32_dpp v193, v14, v193 row_newbcast:1 row_mask:0xf bank_mask:0xf// 0000000042B0: 0B8382FA FF01510E
	v_mul_f32_dpp v194, v14, v194 row_newbcast:2 row_mask:0xf bank_mask:0xf// 0000000042B8: 0B8584FA FF01520E
	v_mul_f32_dpp v195, v14, v195 row_newbcast:3 row_mask:0xf bank_mask:0xf// 0000000042C0: 0B8786FA FF01530E
	v_mul_f32_dpp v196, v14, v196 row_newbcast:0 row_mask:0xf bank_mask:0xf// 0000000042C8: 0B8988FA FF01500E
	v_mul_f32_dpp v197, v14, v197 row_newbcast:1 row_mask:0xf bank_mask:0xf// 0000000042D0: 0B8B8AFA FF01510E
	v_mul_f32_dpp v198, v14, v198 row_newbcast:2 row_mask:0xf bank_mask:0xf// 0000000042D8: 0B8D8CFA FF01520E
	v_mul_f32_dpp v199, v14, v199 row_newbcast:3 row_mask:0xf bank_mask:0xf// 0000000042E0: 0B8F8EFA FF01530E
	v_mul_f32_dpp v200, v14, v200 row_newbcast:4 row_mask:0xf bank_mask:0xf// 0000000042E8: 0B9190FA FF01540E
	v_mul_f32_dpp v201, v14, v201 row_newbcast:5 row_mask:0xf bank_mask:0xf// 0000000042F0: 0B9392FA FF01550E
	v_mul_f32_dpp v202, v14, v202 row_newbcast:6 row_mask:0xf bank_mask:0xf// 0000000042F8: 0B9594FA FF01560E
	v_mul_f32_dpp v203, v14, v203 row_newbcast:7 row_mask:0xf bank_mask:0xf// 000000004300: 0B9796FA FF01570E
	v_mul_f32_dpp v204, v14, v204 row_newbcast:4 row_mask:0xf bank_mask:0xf// 000000004308: 0B9998FA FF01540E
	v_mul_f32_dpp v205, v14, v205 row_newbcast:5 row_mask:0xf bank_mask:0xf// 000000004310: 0B9B9AFA FF01550E
	v_mul_f32_dpp v206, v14, v206 row_newbcast:6 row_mask:0xf bank_mask:0xf// 000000004318: 0B9D9CFA FF01560E
	v_mul_f32_dpp v207, v14, v207 row_newbcast:7 row_mask:0xf bank_mask:0xf// 000000004320: 0B9F9EFA FF01570E
	s_waitcnt lgkmcnt(0)                                       // 000000004328: BF8CC07F
	v_and_b32_e32 v211, 0xffff0000, v209                       // 00000000432C: 27A7A2FF FFFF0000
	v_lshlrev_b32_e32 v210, 16, v209                           // 000000004334: 25A5A290
	v_and_b32_e32 v209, 0xffff0000, v208                       // 000000004338: 27A3A0FF FFFF0000
	v_lshlrev_b32_e32 v208, 16, v208                           // 000000004340: 25A1A090
	v_and_b32_e32 v215, 0xffff0000, v213                       // 000000004344: 27AFAAFF FFFF0000
	v_lshlrev_b32_e32 v214, 16, v213                           // 00000000434C: 25ADAA90
	v_and_b32_e32 v213, 0xffff0000, v212                       // 000000004350: 27ABA8FF FFFF0000
	v_lshlrev_b32_e32 v212, 16, v212                           // 000000004358: 25A9A890
	v_and_b32_e32 v219, 0xffff0000, v217                       // 00000000435C: 27B7B2FF FFFF0000
	v_lshlrev_b32_e32 v218, 16, v217                           // 000000004364: 25B5B290
	v_and_b32_e32 v217, 0xffff0000, v216                       // 000000004368: 27B3B0FF FFFF0000
	v_lshlrev_b32_e32 v216, 16, v216                           // 000000004370: 25B1B090
	v_and_b32_e32 v223, 0xffff0000, v221                       // 000000004374: 27BFBAFF FFFF0000
	v_lshlrev_b32_e32 v222, 16, v221                           // 00000000437C: 25BDBA90
	v_and_b32_e32 v221, 0xffff0000, v220                       // 000000004380: 27BBB8FF FFFF0000
	v_lshlrev_b32_e32 v220, 16, v220                           // 000000004388: 25B9B890
	v_mul_f32_dpp v208, v14, v208 row_newbcast:8 row_mask:0xf bank_mask:0xf// 00000000438C: 0BA1A0FA FF01580E
	v_mul_f32_dpp v209, v14, v209 row_newbcast:9 row_mask:0xf bank_mask:0xf// 000000004394: 0BA3A2FA FF01590E
	v_mul_f32_dpp v210, v14, v210 row_newbcast:10 row_mask:0xf bank_mask:0xf// 00000000439C: 0BA5A4FA FF015A0E
	v_mul_f32_dpp v211, v14, v211 row_newbcast:11 row_mask:0xf bank_mask:0xf// 0000000043A4: 0BA7A6FA FF015B0E
	v_mul_f32_dpp v212, v14, v212 row_newbcast:8 row_mask:0xf bank_mask:0xf// 0000000043AC: 0BA9A8FA FF01580E
	v_mul_f32_dpp v213, v14, v213 row_newbcast:9 row_mask:0xf bank_mask:0xf// 0000000043B4: 0BABAAFA FF01590E
	v_mul_f32_dpp v214, v14, v214 row_newbcast:10 row_mask:0xf bank_mask:0xf// 0000000043BC: 0BADACFA FF015A0E
	v_mul_f32_dpp v215, v14, v215 row_newbcast:11 row_mask:0xf bank_mask:0xf// 0000000043C4: 0BAFAEFA FF015B0E
	v_mul_f32_dpp v216, v14, v216 row_newbcast:12 row_mask:0xf bank_mask:0xf// 0000000043CC: 0BB1B0FA FF015C0E
	v_mul_f32_dpp v217, v14, v217 row_newbcast:13 row_mask:0xf bank_mask:0xf// 0000000043D4: 0BB3B2FA FF015D0E
	v_mul_f32_dpp v218, v14, v218 row_newbcast:14 row_mask:0xf bank_mask:0xf// 0000000043DC: 0BB5B4FA FF015E0E
	v_mul_f32_dpp v219, v14, v219 row_newbcast:15 row_mask:0xf bank_mask:0xf// 0000000043E4: 0BB7B6FA FF015F0E
	v_mul_f32_dpp v220, v14, v220 row_newbcast:12 row_mask:0xf bank_mask:0xf// 0000000043EC: 0BB9B8FA FF015C0E
	v_mul_f32_dpp v221, v14, v221 row_newbcast:13 row_mask:0xf bank_mask:0xf// 0000000043F4: 0BBBBAFA FF015D0E
	v_mul_f32_dpp v222, v14, v222 row_newbcast:14 row_mask:0xf bank_mask:0xf// 0000000043FC: 0BBDBCFA FF015E0E
	v_mul_f32_dpp v223, v14, v223 row_newbcast:15 row_mask:0xf bank_mask:0xf// 000000004404: 0BBFBEFA FF015F0E
	v_mfma_i32_16x16x32_i8 v[228:231], a[64:65], v[176:177], 0 // 00000000440C: D3D700E4 0A036140
	v_mfma_i32_16x16x32_i8 v[228:231], a[66:67], v[178:179], v[228:231]// 000000004414: D3D700E4 0F936542
	buffer_load_dwordx4 a[8:11], v34, s[24:27], 0 offen offset:2048// 00000000441C: E05C1800 80860822
	v_mov_b32_e32 v42, 0x358637bd                              // 000000004424: 7E5402FF 358637BD
	v_mov_b32_e32 v43, 0x358637bd                              // 00000000442C: 7E5602FF 358637BD
	v_max3_f32 v42, |v192|, |v193|, v42                        // 000000004434: D1D3032A 04AB83C0
	v_max3_f32 v42, |v194|, |v195|, v42                        // 00000000443C: D1D3032A 04AB87C2
	v_max3_f32 v43, |v196|, |v197|, v43                        // 000000004444: D1D3032B 04AF8BC4
	v_max3_f32 v43, |v198|, |v199|, v43                        // 00000000444C: D1D3032B 04AF8FC6
	v_max3_f32 v42, |v200|, |v201|, v42                        // 000000004454: D1D3032A 04AB93C8
	v_max3_f32 v42, |v202|, |v203|, v42                        // 00000000445C: D1D3032A 04AB97CA
	v_max3_f32 v43, |v204|, |v205|, v43                        // 000000004464: D1D3032B 04AF9BCC
	v_max3_f32 v43, |v206|, |v207|, v43                        // 00000000446C: D1D3032B 04AF9FCE
	v_max3_f32 v42, |v208|, |v209|, v42                        // 000000004474: D1D3032A 04ABA3D0
	v_max3_f32 v42, |v210|, |v211|, v42                        // 00000000447C: D1D3032A 04ABA7D2
	v_max3_f32 v43, |v212|, |v213|, v43                        // 000000004484: D1D3032B 04AFABD4
	v_max3_f32 v43, |v214|, |v215|, v43                        // 00000000448C: D1D3032B 04AFAFD6
	v_max3_f32 v42, |v216|, |v217|, v42                        // 000000004494: D1D3032A 04ABB3D8
	v_max3_f32 v42, |v218|, |v219|, v42                        // 00000000449C: D1D3032A 04ABB7DA
	v_max3_f32 v43, |v220|, |v221|, v43                        // 0000000044A4: D1D3032B 04AFBBDC
	v_max3_f32 v43, |v222|, |v223|, v43                        // 0000000044AC: D1D3032B 04AFBFDE
	v_mfma_i32_16x16x32_i8 v[228:231], a[68:69], v[180:181], v[228:231]// 0000000044B4: D3D700E4 0F936944
	ds_write_b64 v3, v[42:43]                                  // 0000000044BC: D89A0000 00002A03
	v_mfma_i32_16x16x32_i8 v[228:231], a[70:71], v[182:183], v[228:231]// 0000000044C4: D3D700E4 0F936D46
	v_mfma_i32_16x16x32_i8 v[228:231], a[72:73], v[184:185], v[228:231]// 0000000044CC: D3D700E4 0F937148
	v_mfma_i32_16x16x32_i8 v[228:231], a[74:75], v[186:187], v[228:231]// 0000000044D4: D3D700E4 0F93754A
	buffer_load_dwordx4 a[12:15], v34, s[24:27], 0 offen offset:3072// 0000000044DC: E05C1C00 80860C22
	s_waitcnt lgkmcnt(0)                                       // 0000000044E4: BF8CC07F
	s_barrier                                                  // 0000000044E8: BF8A0000
	v_mfma_i32_16x16x32_i8 v[228:231], a[76:77], v[188:189], v[228:231]// 0000000044EC: D3D700E4 0F93794C
	ds_read_b64 v[42:43], v4                                   // 0000000044F4: D8EC0000 2A000004
	ds_read_b64 v[44:45], v4 offset:128                        // 0000000044FC: D8EC0080 2C000004
	v_mfma_i32_16x16x32_i8 v[228:231], a[78:79], v[190:191], v[228:231]// 000000004504: D3D700E4 0F937D4E
	v_cvt_f32_i32_e32 v224, v224                               // 00000000450C: 7FC00BE0
	v_cvt_f32_i32_e32 v225, v225                               // 000000004510: 7FC20BE1
	v_cvt_f32_i32_e32 v226, v226                               // 000000004514: 7FC40BE2
	v_cvt_f32_i32_e32 v227, v227                               // 000000004518: 7FC60BE3
	v_pk_fma_f32 v[64:65], v[224:225], v[232:233], v[64:65]    // 00000000451C: D3B04040 1D03D1E0
	v_pk_fma_f32 v[66:67], v[226:227], v[232:233], v[66:67]    // 000000004524: D3B04042 1D0BD1E2
	v_mfma_i32_16x16x32_i8 v[224:227], a[80:81], v[160:161], 0 // 00000000452C: D3D700E0 0A034150
	ds_read_b64 v[46:47], v4 offset:256                        // 000000004534: D8EC0100 2E000004
	ds_read_b64 v[48:49], v4 offset:384                        // 00000000453C: D8EC0180 30000004
	v_mfma_i32_16x16x32_i8 v[224:227], a[82:83], v[162:163], v[224:227]// 000000004544: D3D700E0 0F834552
	buffer_load_dwordx4 a[16:19], v35, s[24:27], 0 offen       // 00000000454C: E05C1000 80861023
	v_mfma_i32_16x16x32_i8 v[224:227], a[84:85], v[164:165], v[224:227]// 000000004554: D3D700E0 0F834954
	ds_read_b64 v[50:51], v4 offset:512                        // 00000000455C: D8EC0200 32000004
	ds_read_b64 v[52:53], v4 offset:640                        // 000000004564: D8EC0280 34000004
	v_mfma_i32_16x16x32_i8 v[224:227], a[86:87], v[166:167], v[224:227]// 00000000456C: D3D700E0 0F834D56
	v_mfma_i32_16x16x32_i8 v[224:227], a[88:89], v[168:169], v[224:227]// 000000004574: D3D700E0 0F835158
	ds_read_b64 v[54:55], v4 offset:768                        // 00000000457C: D8EC0300 36000004
	ds_read_b64 v[56:57], v4 offset:896                        // 000000004584: D8EC0380 38000004
	v_mfma_i32_16x16x32_i8 v[224:227], a[90:91], v[170:171], v[224:227]// 00000000458C: D3D700E0 0F83555A
	buffer_load_dwordx4 a[20:23], v35, s[24:27], 0 offen offset:1024// 000000004594: E05C1400 80861423
	v_mfma_i32_16x16x32_i8 v[224:227], a[92:93], v[172:173], v[224:227]// 00000000459C: D3D700E0 0F83595C
	v_mfma_i32_16x16x32_i8 v[224:227], a[94:95], v[174:175], v[224:227]// 0000000045A4: D3D700E0 0F835D5E
	s_waitcnt lgkmcnt(0)                                       // 0000000045AC: BF8CC07F
	v_mov_b32_e32 v20, 0x358637bd                              // 0000000045B0: 7E2802FF 358637BD
	v_mov_b32_e32 v21, 0x358637bd                              // 0000000045B8: 7E2A02FF 358637BD
	v_max3_f32 v20, |v42|, |v44|, v20                          // 0000000045C0: D1D30314 0452592A
	v_max3_f32 v21, |v43|, |v45|, v21                          // 0000000045C8: D1D30315 04565B2B
	v_max3_f32 v20, |v46|, |v48|, v20                          // 0000000045D0: D1D30314 0452612E
	v_max3_f32 v21, |v47|, |v49|, v21                          // 0000000045D8: D1D30315 0456632F
	v_max3_f32 v20, |v50|, |v52|, v20                          // 0000000045E0: D1D30314 04526932
	v_max3_f32 v21, |v51|, |v53|, v21                          // 0000000045E8: D1D30315 04566B33
	v_max3_f32 v20, |v54|, |v56|, v20                          // 0000000045F0: D1D30314 04527136
	v_max3_f32 v21, |v55|, |v57|, v21                          // 0000000045F8: D1D30315 04567337
	v_cvt_f32_i32_e32 v228, v228                               // 000000004600: 7FC80BE4
	v_cvt_f32_i32_e32 v229, v229                               // 000000004604: 7FCA0BE5
	v_cvt_f32_i32_e32 v230, v230                               // 000000004608: 7FCC0BE6
	v_cvt_f32_i32_e32 v231, v231                               // 00000000460C: 7FCE0BE7
	v_pk_fma_f32 v[68:69], v[228:229], v[234:235], v[68:69]    // 000000004610: D3B04044 1D13D5E4
	v_pk_fma_f32 v[70:71], v[230:231], v[234:235], v[70:71]    // 000000004618: D3B04046 1D1BD5E6
	v_mfma_i32_16x16x32_i8 v[228:231], a[80:81], v[176:177], 0 // 000000004620: D3D700E4 0A036150
	ds_read_b64 v[42:43], v4 offset:1024                       // 000000004628: D8EC0400 2A000004
	ds_read_b64 v[44:45], v4 offset:1152                       // 000000004630: D8EC0480 2C000004
	v_mfma_i32_16x16x32_i8 v[228:231], a[82:83], v[178:179], v[228:231]// 000000004638: D3D700E4 0F936552
	buffer_load_dwordx4 a[24:27], v35, s[24:27], 0 offen offset:2048// 000000004640: E05C1800 80861823
	v_mfma_i32_16x16x32_i8 v[228:231], a[84:85], v[180:181], v[228:231]// 000000004648: D3D700E4 0F936954
	ds_read_b64 v[46:47], v4 offset:1280                       // 000000004650: D8EC0500 2E000004
	ds_read_b64 v[48:49], v4 offset:1408                       // 000000004658: D8EC0580 30000004
	v_mfma_i32_16x16x32_i8 v[228:231], a[86:87], v[182:183], v[228:231]// 000000004660: D3D700E4 0F936D56
	v_mfma_i32_16x16x32_i8 v[228:231], a[88:89], v[184:185], v[228:231]// 000000004668: D3D700E4 0F937158
	ds_read_b64 v[50:51], v4 offset:1536                       // 000000004670: D8EC0600 32000004
	ds_read_b64 v[52:53], v4 offset:1664                       // 000000004678: D8EC0680 34000004
	v_mfma_i32_16x16x32_i8 v[228:231], a[90:91], v[186:187], v[228:231]// 000000004680: D3D700E4 0F93755A
	buffer_load_dwordx4 a[28:31], v35, s[24:27], 0 offen offset:3072// 000000004688: E05C1C00 80861C23
	v_mfma_i32_16x16x32_i8 v[228:231], a[92:93], v[188:189], v[228:231]// 000000004690: D3D700E4 0F93795C
	ds_read_b64 v[54:55], v4 offset:1792                       // 000000004698: D8EC0700 36000004
	ds_read_b64 v[56:57], v4 offset:1920                       // 0000000046A0: D8EC0780 38000004
	v_mfma_i32_16x16x32_i8 v[228:231], a[94:95], v[190:191], v[228:231]// 0000000046A8: D3D700E4 0F937D5E
	v_cvt_f32_i32_e32 v224, v224                               // 0000000046B0: 7FC00BE0
	v_cvt_f32_i32_e32 v225, v225                               // 0000000046B4: 7FC20BE1
	v_cvt_f32_i32_e32 v226, v226                               // 0000000046B8: 7FC40BE2
	v_cvt_f32_i32_e32 v227, v227                               // 0000000046BC: 7FC60BE3
	v_pk_fma_f32 v[72:73], v[224:225], v[232:233], v[72:73]    // 0000000046C0: D3B04048 1D23D1E0
	v_pk_fma_f32 v[74:75], v[226:227], v[232:233], v[74:75]    // 0000000046C8: D3B0404A 1D2BD1E2
	s_waitcnt vmcnt(12)                                        // 0000000046D0: BF8C0F7C
	v_mfma_i32_16x16x32_i8 v[224:227], a[96:97], v[160:161], 0 // 0000000046D4: D3D700E0 0A034160
	v_mfma_i32_16x16x32_i8 v[224:227], a[98:99], v[162:163], v[224:227]// 0000000046DC: D3D700E0 0F834562
	buffer_load_dwordx4 a[32:35], v36, s[24:27], 0 offen       // 0000000046E4: E05C1000 80862024
	s_waitcnt lgkmcnt(0)                                       // 0000000046EC: BF8CC07F
	v_max3_f32 v20, |v42|, |v44|, v20                          // 0000000046F0: D1D30314 0452592A
	v_max3_f32 v21, |v43|, |v45|, v21                          // 0000000046F8: D1D30315 04565B2B
	v_max3_f32 v20, |v46|, |v48|, v20                          // 000000004700: D1D30314 0452612E
	v_max3_f32 v21, |v47|, |v49|, v21                          // 000000004708: D1D30315 0456632F
	v_max3_f32 v20, |v50|, |v52|, v20                          // 000000004710: D1D30314 04526932
	v_max3_f32 v21, |v51|, |v53|, v21                          // 000000004718: D1D30315 04566B33
	v_max3_f32 v20, |v54|, |v56|, v20                          // 000000004720: D1D30314 04527136
	v_max3_f32 v21, |v55|, |v57|, v21                          // 000000004728: D1D30315 04567337
	v_mov_b32_e32 v38, 0x42fe0000                              // 000000004730: 7E4C02FF 42FE0000
	v_rcp_f32_e32 v20, v20                                     // 000000004738: 7E284514
	v_rcp_f32_e32 v21, v21                                     // 00000000473C: 7E2A4515
	s_nop 1                                                    // 000000004740: BF800001
	v_mul_f32_e32 v20, v38, v20                                // 000000004744: 0A282926
	v_mul_f32_e32 v21, v38, v21                                // 000000004748: 0A2A2B26
	v_rcp_f32_e32 v24, v20                                     // 00000000474C: 7E304514
	v_rcp_f32_e32 v25, v21                                     // 000000004750: 7E324515
	v_mov_b32_e32 v38, v20                                     // 000000004754: 7E4C0314
	v_mov_b32_e32 v39, v20                                     // 000000004758: 7E4E0314
	v_mov_b32_e32 v40, v21                                     // 00000000475C: 7E500315
	v_mov_b32_e32 v41, v21                                     // 000000004760: 7E520315
	v_pk_mul_f32 v[192:193], v[38:39], v[192:193]              // 000000004764: D3B140C0 18038126
	v_pk_mul_f32 v[194:195], v[38:39], v[194:195]              // 00000000476C: D3B140C2 18038526
	v_cvt_i32_f32_e32 v192, v192                               // 000000004774: 7F8011C0
	v_cvt_i32_f32_e32 v193, v193                               // 000000004778: 7F8211C1
	v_cvt_i32_f32_e32 v194, v194                               // 00000000477C: 7F8411C2
	v_cvt_i32_f32_e32 v195, v195                               // 000000004780: 7F8611C3
	v_perm_b32 v192, v193, v192, s53                           // 000000004784: D1ED00C0 00D781C1
	v_perm_b32 v192, v194, v192, s54                           // 00000000478C: D1ED00C0 00DB81C2
	v_perm_b32 v192, v195, v192, s55                           // 000000004794: D1ED00C0 00DF81C3
	v_pk_mul_f32 v[196:197], v[40:41], v[196:197]              // 00000000479C: D3B140C4 18038928
	v_pk_mul_f32 v[198:199], v[40:41], v[198:199]              // 0000000047A4: D3B140C6 18038D28
	v_cvt_i32_f32_e32 v196, v196                               // 0000000047AC: 7F8811C4
	v_cvt_i32_f32_e32 v197, v197                               // 0000000047B0: 7F8A11C5
	v_cvt_i32_f32_e32 v198, v198                               // 0000000047B4: 7F8C11C6
	v_cvt_i32_f32_e32 v199, v199                               // 0000000047B8: 7F8E11C7
	v_perm_b32 v193, v197, v196, s53                           // 0000000047BC: D1ED00C1 00D789C5
	v_perm_b32 v193, v198, v193, s54                           // 0000000047C4: D1ED00C1 00DB83C6
	v_perm_b32 v193, v199, v193, s55                           // 0000000047CC: D1ED00C1 00DF83C7
	v_pk_mul_f32 v[200:201], v[38:39], v[200:201]              // 0000000047D4: D3B140C8 18039126
	v_pk_mul_f32 v[202:203], v[38:39], v[202:203]              // 0000000047DC: D3B140CA 18039526
	v_cvt_i32_f32_e32 v200, v200                               // 0000000047E4: 7F9011C8
	v_cvt_i32_f32_e32 v201, v201                               // 0000000047E8: 7F9211C9
	v_cvt_i32_f32_e32 v202, v202                               // 0000000047EC: 7F9411CA
	v_cvt_i32_f32_e32 v203, v203                               // 0000000047F0: 7F9611CB
	v_perm_b32 v194, v201, v200, s53                           // 0000000047F4: D1ED00C2 00D791C9
	v_perm_b32 v194, v202, v194, s54                           // 0000000047FC: D1ED00C2 00DB85CA
	v_perm_b32 v194, v203, v194, s55                           // 000000004804: D1ED00C2 00DF85CB
	v_pk_mul_f32 v[204:205], v[40:41], v[204:205]              // 00000000480C: D3B140CC 18039928
	v_pk_mul_f32 v[206:207], v[40:41], v[206:207]              // 000000004814: D3B140CE 18039D28
	v_cvt_i32_f32_e32 v204, v204                               // 00000000481C: 7F9811CC
	v_cvt_i32_f32_e32 v205, v205                               // 000000004820: 7F9A11CD
	v_cvt_i32_f32_e32 v206, v206                               // 000000004824: 7F9C11CE
	v_cvt_i32_f32_e32 v207, v207                               // 000000004828: 7F9E11CF
	v_perm_b32 v195, v205, v204, s53                           // 00000000482C: D1ED00C3 00D799CD
	v_perm_b32 v195, v206, v195, s54                           // 000000004834: D1ED00C3 00DB87CE
	v_perm_b32 v195, v207, v195, s55                           // 00000000483C: D1ED00C3 00DF87CF
	v_pk_mul_f32 v[208:209], v[38:39], v[208:209]              // 000000004844: D3B140D0 1803A126
	v_pk_mul_f32 v[210:211], v[38:39], v[210:211]              // 00000000484C: D3B140D2 1803A526
	v_cvt_i32_f32_e32 v208, v208                               // 000000004854: 7FA011D0
	v_cvt_i32_f32_e32 v209, v209                               // 000000004858: 7FA211D1
	v_cvt_i32_f32_e32 v210, v210                               // 00000000485C: 7FA411D2
	v_cvt_i32_f32_e32 v211, v211                               // 000000004860: 7FA611D3
	v_perm_b32 v196, v209, v208, s53                           // 000000004864: D1ED00C4 00D7A1D1
	v_perm_b32 v196, v210, v196, s54                           // 00000000486C: D1ED00C4 00DB89D2
	v_perm_b32 v196, v211, v196, s55                           // 000000004874: D1ED00C4 00DF89D3
	v_pk_mul_f32 v[212:213], v[40:41], v[212:213]              // 00000000487C: D3B140D4 1803A928
	v_pk_mul_f32 v[214:215], v[40:41], v[214:215]              // 000000004884: D3B140D6 1803AD28
	v_cvt_i32_f32_e32 v212, v212                               // 00000000488C: 7FA811D4
	v_cvt_i32_f32_e32 v213, v213                               // 000000004890: 7FAA11D5
	v_cvt_i32_f32_e32 v214, v214                               // 000000004894: 7FAC11D6
	v_cvt_i32_f32_e32 v215, v215                               // 000000004898: 7FAE11D7
	v_perm_b32 v197, v213, v212, s53                           // 00000000489C: D1ED00C5 00D7A9D5
	v_perm_b32 v197, v214, v197, s54                           // 0000000048A4: D1ED00C5 00DB8BD6
	v_perm_b32 v197, v215, v197, s55                           // 0000000048AC: D1ED00C5 00DF8BD7
	v_pk_mul_f32 v[216:217], v[38:39], v[216:217]              // 0000000048B4: D3B140D8 1803B126
	v_pk_mul_f32 v[218:219], v[38:39], v[218:219]              // 0000000048BC: D3B140DA 1803B526
	v_cvt_i32_f32_e32 v216, v216                               // 0000000048C4: 7FB011D8
	v_cvt_i32_f32_e32 v217, v217                               // 0000000048C8: 7FB211D9
	v_cvt_i32_f32_e32 v218, v218                               // 0000000048CC: 7FB411DA
	v_cvt_i32_f32_e32 v219, v219                               // 0000000048D0: 7FB611DB
	v_perm_b32 v198, v217, v216, s53                           // 0000000048D4: D1ED00C6 00D7B1D9
	v_perm_b32 v198, v218, v198, s54                           // 0000000048DC: D1ED00C6 00DB8DDA
	v_perm_b32 v198, v219, v198, s55                           // 0000000048E4: D1ED00C6 00DF8DDB
	v_pk_mul_f32 v[220:221], v[40:41], v[220:221]              // 0000000048EC: D3B140DC 1803B928
	v_pk_mul_f32 v[222:223], v[40:41], v[222:223]              // 0000000048F4: D3B140DE 1803BD28
	v_cvt_i32_f32_e32 v220, v220                               // 0000000048FC: 7FB811DC
	v_cvt_i32_f32_e32 v221, v221                               // 000000004900: 7FBA11DD
	v_cvt_i32_f32_e32 v222, v222                               // 000000004904: 7FBC11DE
	v_cvt_i32_f32_e32 v223, v223                               // 000000004908: 7FBE11DF
	v_perm_b32 v199, v221, v220, s53                           // 00000000490C: D1ED00C7 00D7B9DD
	v_perm_b32 v199, v222, v199, s54                           // 000000004914: D1ED00C7 00DB8FDE
	v_perm_b32 v199, v223, v199, s55                           // 00000000491C: D1ED00C7 00DF8FDF
	v_mfma_i32_16x16x32_i8 v[224:227], a[100:101], v[164:165], v[224:227]// 000000004924: D3D700E0 0F834964
	ds_write_b32 v11, v192 offset:2048                         // 00000000492C: D81A0800 0000C00B
	ds_write_b32 v11, v193 offset:6144                         // 000000004934: D81A1800 0000C10B
	v_mfma_i32_16x16x32_i8 v[224:227], a[102:103], v[166:167], v[224:227]// 00000000493C: D3D700E0 0F834D66
	v_mfma_i32_16x16x32_i8 v[224:227], a[104:105], v[168:169], v[224:227]// 000000004944: D3D700E0 0F835168
	ds_write_b32 v11, v194 offset:3072                         // 00000000494C: D81A0C00 0000C20B
	ds_write_b32 v11, v195 offset:7168                         // 000000004954: D81A1C00 0000C30B
	v_mfma_i32_16x16x32_i8 v[224:227], a[106:107], v[170:171], v[224:227]// 00000000495C: D3D700E0 0F83556A
	buffer_load_dwordx4 a[36:39], v36, s[24:27], 0 offen offset:1024// 000000004964: E05C1400 80862424
	v_mfma_i32_16x16x32_i8 v[224:227], a[108:109], v[172:173], v[224:227]// 00000000496C: D3D700E0 0F83596C
	ds_write_b32 v11, v196 offset:4096                         // 000000004974: D81A1000 0000C40B
	ds_write_b32 v11, v197 offset:8192                         // 00000000497C: D81A2000 0000C50B
	v_mfma_i32_16x16x32_i8 v[224:227], a[110:111], v[174:175], v[224:227]// 000000004984: D3D700E0 0F835D6E
	v_cvt_f32_i32_e32 v228, v228                               // 00000000498C: 7FC80BE4
	v_cvt_f32_i32_e32 v229, v229                               // 000000004990: 7FCA0BE5
	v_cvt_f32_i32_e32 v230, v230                               // 000000004994: 7FCC0BE6
	v_cvt_f32_i32_e32 v231, v231                               // 000000004998: 7FCE0BE7
	v_pk_fma_f32 v[76:77], v[228:229], v[234:235], v[76:77]    // 00000000499C: D3B0404C 1D33D5E4
	v_pk_fma_f32 v[78:79], v[230:231], v[234:235], v[78:79]    // 0000000049A4: D3B0404E 1D3BD5E6
	v_mfma_i32_16x16x32_i8 v[228:231], a[96:97], v[176:177], 0 // 0000000049AC: D3D700E4 0A036160
	ds_write_b32 v11, v198 offset:5120                         // 0000000049B4: D81A1400 0000C60B
	ds_write_b32 v11, v199 offset:9216                         // 0000000049BC: D81A2400 0000C70B
	v_mfma_i32_16x16x32_i8 v[228:231], a[98:99], v[178:179], v[228:231]// 0000000049C4: D3D700E4 0F936562
	buffer_load_dwordx4 a[40:43], v36, s[24:27], 0 offen offset:2048// 0000000049CC: E05C1800 80862824
	v_mfma_i32_16x16x32_i8 v[228:231], a[100:101], v[180:181], v[228:231]// 0000000049D4: D3D700E4 0F936964
	v_mfma_i32_16x16x32_i8 v[228:231], a[102:103], v[182:183], v[228:231]// 0000000049DC: D3D700E4 0F936D66
	v_mfma_i32_16x16x32_i8 v[228:231], a[104:105], v[184:185], v[228:231]// 0000000049E4: D3D700E4 0F937168
	v_mfma_i32_16x16x32_i8 v[228:231], a[106:107], v[186:187], v[228:231]// 0000000049EC: D3D700E4 0F93756A
	buffer_load_dwordx4 a[44:47], v36, s[24:27], 0 offen offset:3072// 0000000049F4: E05C1C00 80862C24
	v_mfma_i32_16x16x32_i8 v[228:231], a[108:109], v[188:189], v[228:231]// 0000000049FC: D3D700E4 0F93796C
	v_mfma_i32_16x16x32_i8 v[228:231], a[110:111], v[190:191], v[228:231]// 000000004A04: D3D700E4 0F937D6E
	s_waitcnt lgkmcnt(0)                                       // 000000004A0C: BF8CC07F
	s_barrier                                                  // 000000004A10: BF8A0000
	v_cvt_f32_i32_e32 v224, v224                               // 000000004A14: 7FC00BE0
	v_cvt_f32_i32_e32 v225, v225                               // 000000004A18: 7FC20BE1
	v_cvt_f32_i32_e32 v226, v226                               // 000000004A1C: 7FC40BE2
	v_cvt_f32_i32_e32 v227, v227                               // 000000004A20: 7FC60BE3
	v_pk_fma_f32 v[80:81], v[224:225], v[232:233], v[80:81]    // 000000004A24: D3B04050 1D43D1E0
	v_pk_fma_f32 v[82:83], v[226:227], v[232:233], v[82:83]    // 000000004A2C: D3B04052 1D4BD1E2
	s_waitcnt vmcnt(12)                                        // 000000004A34: BF8C0F7C
	v_mfma_i32_16x16x32_i8 v[224:227], a[112:113], v[160:161], 0// 000000004A38: D3D700E0 0A034170
	ds_read_b64 v[192:193], v12 offset:2048                    // 000000004A40: D8EC0800 C000000C
	ds_read_b64 v[194:195], v12 offset:2176                    // 000000004A48: D8EC0880 C200000C
	v_mfma_i32_16x16x32_i8 v[224:227], a[114:115], v[162:163], v[224:227]// 000000004A50: D3D700E0 0F834572
	buffer_load_dwordx4 a[48:51], v37, s[24:27], 0 offen       // 000000004A58: E05C1000 80863025
	v_mfma_i32_16x16x32_i8 v[224:227], a[116:117], v[164:165], v[224:227]// 000000004A60: D3D700E0 0F834974
	ds_read_b64 v[196:197], v12 offset:3072                    // 000000004A68: D8EC0C00 C400000C
	ds_read_b64 v[198:199], v12 offset:3200                    // 000000004A70: D8EC0C80 C600000C
	v_mfma_i32_16x16x32_i8 v[224:227], a[118:119], v[166:167], v[224:227]// 000000004A78: D3D700E0 0F834D76
	v_mfma_i32_16x16x32_i8 v[224:227], a[120:121], v[168:169], v[224:227]// 000000004A80: D3D700E0 0F835178
	ds_read_b64 v[200:201], v12 offset:4096                    // 000000004A88: D8EC1000 C800000C
	ds_read_b64 v[202:203], v12 offset:4224                    // 000000004A90: D8EC1080 CA00000C
	v_mfma_i32_16x16x32_i8 v[224:227], a[122:123], v[170:171], v[224:227]// 000000004A98: D3D700E0 0F83557A
	buffer_load_dwordx4 a[52:55], v37, s[24:27], 0 offen offset:1024// 000000004AA0: E05C1400 80863425
	v_mfma_i32_16x16x32_i8 v[224:227], a[124:125], v[172:173], v[224:227]// 000000004AA8: D3D700E0 0F83597C
	ds_read_b64 v[204:205], v12 offset:5120                    // 000000004AB0: D8EC1400 CC00000C
	ds_read_b64 v[206:207], v12 offset:5248                    // 000000004AB8: D8EC1480 CE00000C
	v_mfma_i32_16x16x32_i8 v[224:227], a[126:127], v[174:175], v[224:227]// 000000004AC0: D3D700E0 0F835D7E
	v_cvt_f32_i32_e32 v228, v228                               // 000000004AC8: 7FC80BE4
	v_cvt_f32_i32_e32 v229, v229                               // 000000004ACC: 7FCA0BE5
	v_cvt_f32_i32_e32 v230, v230                               // 000000004AD0: 7FCC0BE6
	v_cvt_f32_i32_e32 v231, v231                               // 000000004AD4: 7FCE0BE7
	v_pk_fma_f32 v[84:85], v[228:229], v[234:235], v[84:85]    // 000000004AD8: D3B04054 1D53D5E4
	v_pk_fma_f32 v[86:87], v[230:231], v[234:235], v[86:87]    // 000000004AE0: D3B04056 1D5BD5E6
	v_mfma_i32_16x16x32_i8 v[228:231], a[112:113], v[176:177], 0// 000000004AE8: D3D700E4 0A036170
	ds_read_b64 v[208:209], v12 offset:6144                    // 000000004AF0: D8EC1800 D000000C
	ds_read_b64 v[210:211], v12 offset:6272                    // 000000004AF8: D8EC1880 D200000C
	v_mfma_i32_16x16x32_i8 v[228:231], a[114:115], v[178:179], v[228:231]// 000000004B00: D3D700E4 0F936572
	buffer_load_dwordx4 a[56:59], v37, s[24:27], 0 offen offset:2048// 000000004B08: E05C1800 80863825
	v_mfma_i32_16x16x32_i8 v[228:231], a[116:117], v[180:181], v[228:231]// 000000004B10: D3D700E4 0F936974
	ds_read_b64 v[212:213], v12 offset:7168                    // 000000004B18: D8EC1C00 D400000C
	ds_read_b64 v[214:215], v12 offset:7296                    // 000000004B20: D8EC1C80 D600000C
	v_mfma_i32_16x16x32_i8 v[228:231], a[118:119], v[182:183], v[228:231]// 000000004B28: D3D700E4 0F936D76
	v_mfma_i32_16x16x32_i8 v[228:231], a[120:121], v[184:185], v[228:231]// 000000004B30: D3D700E4 0F937178
	ds_read_b64 v[216:217], v12 offset:8192                    // 000000004B38: D8EC2000 D800000C
	ds_read_b64 v[218:219], v12 offset:8320                    // 000000004B40: D8EC2080 DA00000C
	v_mfma_i32_16x16x32_i8 v[228:231], a[122:123], v[186:187], v[228:231]// 000000004B48: D3D700E4 0F93757A
	buffer_load_dwordx4 a[60:63], v37, s[24:27], 0 offen offset:3072// 000000004B50: E05C1C00 80863C25
	v_mfma_i32_16x16x32_i8 v[228:231], a[124:125], v[188:189], v[228:231]// 000000004B58: D3D700E4 0F93797C
	ds_read_b64 v[220:221], v12 offset:9216                    // 000000004B60: D8EC2400 DC00000C
	ds_read_b64 v[222:223], v12 offset:9344                    // 000000004B68: D8EC2480 DE00000C
	v_mfma_i32_16x16x32_i8 v[228:231], a[126:127], v[190:191], v[228:231]// 000000004B70: D3D700E4 0F937D7E
	v_cvt_f32_i32_e32 v224, v224                               // 000000004B78: 7FC00BE0
	v_cvt_f32_i32_e32 v225, v225                               // 000000004B7C: 7FC20BE1
	v_cvt_f32_i32_e32 v226, v226                               // 000000004B80: 7FC40BE2
	v_cvt_f32_i32_e32 v227, v227                               // 000000004B84: 7FC60BE3
	v_pk_fma_f32 v[88:89], v[224:225], v[232:233], v[88:89]    // 000000004B88: D3B04058 1D63D1E0
	v_pk_fma_f32 v[90:91], v[226:227], v[232:233], v[90:91]    // 000000004B90: D3B0405A 1D6BD1E2
	v_cvt_f32_i32_e32 v228, v228                               // 000000004B98: 7FC80BE4
	v_cvt_f32_i32_e32 v229, v229                               // 000000004B9C: 7FCA0BE5
	v_cvt_f32_i32_e32 v230, v230                               // 000000004BA0: 7FCC0BE6
	v_cvt_f32_i32_e32 v231, v231                               // 000000004BA4: 7FCE0BE7
	v_pk_fma_f32 v[92:93], v[228:229], v[234:235], v[92:93]    // 000000004BA8: D3B0405C 1D73D5E4
	v_pk_fma_f32 v[94:95], v[230:231], v[234:235], v[94:95]    // 000000004BB0: D3B0405E 1D7BD5E6
	s_add_u32 s60, 0x200, s80                                  // 000000004BB8: 803C50FF 00000200
	s_cmp_lt_u32 s60, s81                                      // 000000004BC0: BF0A513C
	s_cselect_b32 s57, s57, 0                                  // 000000004BC4: 85398039
	s_cselect_b32 s91, s91, 0                                  // 000000004BC8: 855B805B
	s_add_u32 s60, 0x200, s80                                  // 000000004BCC: 803C50FF 00000200
	s_cmp_lt_u32 s60, s81                                      // 000000004BD4: BF0A513C
	s_cselect_b32 s58, s58, 0                                  // 000000004BD8: 853A803A
	s_add_u32 s20, s57, s20                                    // 000000004BDC: 80141439
	s_addc_u32 s21, 0, s21                                     // 000000004BE0: 82151580
	s_add_u32 s28, s91, s28                                    // 000000004BE4: 801C1C5B
	s_addc_u32 s29, 0, s29                                     // 000000004BE8: 821D1D80
	s_add_u32 s24, s58, s24                                    // 000000004BEC: 8018183A
	s_addc_u32 s25, 0, s25                                     // 000000004BF0: 82191980
	s_add_u32 s92, s90, s92                                    // 000000004BF4: 805C5C5A
	s_addc_u32 s93, 0, s93                                     // 000000004BF8: 825D5D80
	s_addk_i32 s80, 0x100                                      // 000000004BFC: B7500100
	s_cmp_lt_i32 s80, s81                                      // 000000004C00: BF045150
	s_cbranch_scc0 label_0B33                                  // 000000004C04: BF8403B1
	v_mov_b32_e32 v232, v24                                    // 000000004C08: 7FD00318
	v_mov_b32_e32 v234, v25                                    // 000000004C0C: 7FD40319
	v_mov_b32_e32 v233, v232                                   // 000000004C10: 7FD203E8
	v_mov_b32_e32 v235, v234                                   // 000000004C14: 7FD603EA
	s_waitcnt vmcnt(8) lgkmcnt(0)                              // 000000004C18: BF8C0078
	s_barrier                                                  // 000000004C1C: BF8A0000
	v_mfma_i32_16x16x32_i8 v[224:227], a[0:1], v[192:193], 0   // 000000004C20: D3D700E0 0A038100
	v_mfma_i32_16x16x32_i8 v[224:227], a[2:3], v[194:195], v[224:227]// 000000004C28: D3D700E0 0F838502
	buffer_load_dwordx4 a[64:67], v34, s[92:95], 0 offen       // 000000004C30: E05C1000 80974022
	v_mfma_i32_16x16x32_i8 v[224:227], a[4:5], v[196:197], v[224:227]// 000000004C38: D3D700E0 0F838904
	v_mfma_i32_16x16x32_i8 v[224:227], a[6:7], v[198:199], v[224:227]// 000000004C40: D3D700E0 0F838D06
	buffer_load_dword v26, s[20:23], 0 offen lds               // 000000004C48: E0511000 8005001A
	buffer_load_dword v26, s[20:23], 0 offen offset:256 lds    // 000000004C50: E0511100 8005001A
	s_add_u32 m0, 0x820, s50                                   // 000000004C58: 807C32FF 00000820
	v_mfma_i32_16x16x32_i8 v[224:227], a[8:9], v[200:201], v[224:227]// 000000004C60: D3D700E0 0F839108
	v_mfma_i32_16x16x32_i8 v[224:227], a[10:11], v[202:203], v[224:227]// 000000004C68: D3D700E0 0F83950A
	buffer_load_dwordx4 a[68:71], v34, s[92:95], 0 offen offset:1024// 000000004C70: E05C1400 80974422
	v_mfma_i32_16x16x32_i8 v[224:227], a[12:13], v[204:205], v[224:227]// 000000004C78: D3D700E0 0F83990C
	v_mfma_i32_16x16x32_i8 v[224:227], a[14:15], v[206:207], v[224:227]// 000000004C80: D3D700E0 0F839D0E
	buffer_load_dword v27, s[20:23], 0 offen lds               // 000000004C88: E0511000 8005001B
	buffer_load_dword v27, s[20:23], 0 offen offset:256 lds    // 000000004C90: E0511100 8005001B
	s_add_u32 m0, 0x1040, s50                                  // 000000004C98: 807C32FF 00001040
	v_mfma_i32_16x16x32_i8 v[228:231], a[0:1], v[208:209], 0   // 000000004CA0: D3D700E4 0A03A100
	v_mfma_i32_16x16x32_i8 v[228:231], a[2:3], v[210:211], v[228:231]// 000000004CA8: D3D700E4 0F93A502
	buffer_load_dwordx4 a[72:75], v34, s[92:95], 0 offen offset:2048// 000000004CB0: E05C1800 80974822
	v_mfma_i32_16x16x32_i8 v[228:231], a[4:5], v[212:213], v[228:231]// 000000004CB8: D3D700E4 0F93A904
	v_mfma_i32_16x16x32_i8 v[228:231], a[6:7], v[214:215], v[228:231]// 000000004CC0: D3D700E4 0F93AD06
	buffer_load_dword v28, s[20:23], 0 offen lds               // 000000004CC8: E0511000 8005001C
	buffer_load_dword v28, s[20:23], 0 offen offset:256 lds    // 000000004CD0: E0511100 8005001C
	s_add_u32 m0, 0x1860, s50                                  // 000000004CD8: 807C32FF 00001860
	v_mfma_i32_16x16x32_i8 v[228:231], a[8:9], v[216:217], v[228:231]// 000000004CE0: D3D700E4 0F93B108
	v_mfma_i32_16x16x32_i8 v[228:231], a[10:11], v[218:219], v[228:231]// 000000004CE8: D3D700E4 0F93B50A
	buffer_load_dwordx4 a[76:79], v34, s[92:95], 0 offen offset:3072// 000000004CF0: E05C1C00 80974C22
	v_mfma_i32_16x16x32_i8 v[228:231], a[12:13], v[220:221], v[228:231]// 000000004CF8: D3D700E4 0F93B90C
	v_mfma_i32_16x16x32_i8 v[228:231], a[14:15], v[222:223], v[228:231]// 000000004D00: D3D700E4 0F93BD0E
	buffer_load_dword v29, s[20:23], 0 offen lds               // 000000004D08: E0511000 8005001D
	buffer_load_dword v29, s[20:23], 0 offen offset:256 lds    // 000000004D10: E0511100 8005001D
	s_add_u32 m0, 0x2080, s50                                  // 000000004D18: 807C32FF 00002080
	v_cvt_f32_i32_e32 v224, v224                               // 000000004D20: 7FC00BE0
	v_cvt_f32_i32_e32 v225, v225                               // 000000004D24: 7FC20BE1
	v_cvt_f32_i32_e32 v226, v226                               // 000000004D28: 7FC40BE2
	v_cvt_f32_i32_e32 v227, v227                               // 000000004D2C: 7FC60BE3
	v_pk_fma_f32 v[128:129], v[224:225], v[232:233], v[128:129]// 000000004D30: D3B04080 1E03D1E0
	v_pk_fma_f32 v[130:131], v[226:227], v[232:233], v[130:131]// 000000004D38: D3B04082 1E0BD1E2
	v_mfma_i32_16x16x32_i8 v[224:227], a[16:17], v[192:193], 0 // 000000004D40: D3D700E0 0A038110
	v_mfma_i32_16x16x32_i8 v[224:227], a[18:19], v[194:195], v[224:227]// 000000004D48: D3D700E0 0F838512
	buffer_load_dwordx4 a[80:83], v35, s[92:95], 0 offen       // 000000004D50: E05C1000 80975023
	v_mfma_i32_16x16x32_i8 v[224:227], a[20:21], v[196:197], v[224:227]// 000000004D58: D3D700E0 0F838914
	v_mfma_i32_16x16x32_i8 v[224:227], a[22:23], v[198:199], v[224:227]// 000000004D60: D3D700E0 0F838D16
	buffer_load_dword v30, s[20:23], 0 offen lds               // 000000004D68: E0511000 8005001E
	buffer_load_dword v30, s[20:23], 0 offen offset:256 lds    // 000000004D70: E0511100 8005001E
	s_add_u32 m0, 0x28a0, s50                                  // 000000004D78: 807C32FF 000028A0
	v_mfma_i32_16x16x32_i8 v[224:227], a[24:25], v[200:201], v[224:227]// 000000004D80: D3D700E0 0F839118
	v_mfma_i32_16x16x32_i8 v[224:227], a[26:27], v[202:203], v[224:227]// 000000004D88: D3D700E0 0F83951A
	buffer_load_dwordx4 a[84:87], v35, s[92:95], 0 offen offset:1024// 000000004D90: E05C1400 80975423
	v_mfma_i32_16x16x32_i8 v[224:227], a[28:29], v[204:205], v[224:227]// 000000004D98: D3D700E0 0F83991C
	v_mfma_i32_16x16x32_i8 v[224:227], a[30:31], v[206:207], v[224:227]// 000000004DA0: D3D700E0 0F839D1E
	buffer_load_dword v31, s[20:23], 0 offen lds               // 000000004DA8: E0511000 8005001F
	buffer_load_dword v31, s[20:23], 0 offen offset:256 lds    // 000000004DB0: E0511100 8005001F
	s_add_u32 m0, 0x30c0, s50                                  // 000000004DB8: 807C32FF 000030C0
	v_cvt_f32_i32_e32 v228, v228                               // 000000004DC0: 7FC80BE4
	v_cvt_f32_i32_e32 v229, v229                               // 000000004DC4: 7FCA0BE5
	v_cvt_f32_i32_e32 v230, v230                               // 000000004DC8: 7FCC0BE6
	v_cvt_f32_i32_e32 v231, v231                               // 000000004DCC: 7FCE0BE7
	v_pk_fma_f32 v[132:133], v[228:229], v[234:235], v[132:133]// 000000004DD0: D3B04084 1E13D5E4
	v_pk_fma_f32 v[134:135], v[230:231], v[234:235], v[134:135]// 000000004DD8: D3B04086 1E1BD5E6
	v_mfma_i32_16x16x32_i8 v[228:231], a[16:17], v[208:209], 0 // 000000004DE0: D3D700E4 0A03A110
	v_mfma_i32_16x16x32_i8 v[228:231], a[18:19], v[210:211], v[228:231]// 000000004DE8: D3D700E4 0F93A512
	buffer_load_dwordx4 a[88:91], v35, s[92:95], 0 offen offset:2048// 000000004DF0: E05C1800 80975823
	v_mfma_i32_16x16x32_i8 v[228:231], a[20:21], v[212:213], v[228:231]// 000000004DF8: D3D700E4 0F93A914
	v_mfma_i32_16x16x32_i8 v[228:231], a[22:23], v[214:215], v[228:231]// 000000004E00: D3D700E4 0F93AD16
	buffer_load_dword v32, s[20:23], 0 offen lds               // 000000004E08: E0511000 80050020
	buffer_load_dword v32, s[20:23], 0 offen offset:256 lds    // 000000004E10: E0511100 80050020
	s_add_u32 m0, 0x38e0, s50                                  // 000000004E18: 807C32FF 000038E0
	v_mfma_i32_16x16x32_i8 v[228:231], a[24:25], v[216:217], v[228:231]// 000000004E20: D3D700E4 0F93B118
	v_mfma_i32_16x16x32_i8 v[228:231], a[26:27], v[218:219], v[228:231]// 000000004E28: D3D700E4 0F93B51A
	buffer_load_dwordx4 a[92:95], v35, s[92:95], 0 offen offset:3072// 000000004E30: E05C1C00 80975C23
	v_mfma_i32_16x16x32_i8 v[228:231], a[28:29], v[220:221], v[228:231]// 000000004E38: D3D700E4 0F93B91C
	v_mfma_i32_16x16x32_i8 v[228:231], a[30:31], v[222:223], v[228:231]// 000000004E40: D3D700E4 0F93BD1E
	buffer_load_dword v33, s[20:23], 0 offen lds               // 000000004E48: E0511000 80050021
	buffer_load_dword v33, s[20:23], 0 offen offset:256 lds    // 000000004E50: E0511100 80050021
	s_add_u32 m0, 0, s51                                       // 000000004E58: 807C3380
	buffer_load_dword v13, v6, s[28:31], 0 offen               // 000000004E5C: E0501000 80070D06
	v_cvt_f32_i32_e32 v224, v224                               // 000000004E64: 7FC00BE0
	v_cvt_f32_i32_e32 v225, v225                               // 000000004E68: 7FC20BE1
	v_cvt_f32_i32_e32 v226, v226                               // 000000004E6C: 7FC40BE2
	v_cvt_f32_i32_e32 v227, v227                               // 000000004E70: 7FC60BE3
	v_pk_fma_f32 v[136:137], v[224:225], v[232:233], v[136:137]// 000000004E74: D3B04088 1E23D1E0
	v_pk_fma_f32 v[138:139], v[226:227], v[232:233], v[138:139]// 000000004E7C: D3B0408A 1E2BD1E2
	s_waitcnt vmcnt(29)                                        // 000000004E84: BF8C4F7D
	v_mfma_i32_16x16x32_i8 v[224:227], a[32:33], v[192:193], 0 // 000000004E88: D3D700E0 0A038120
	v_mfma_i32_16x16x32_i8 v[224:227], a[34:35], v[194:195], v[224:227]// 000000004E90: D3D700E0 0F838522
	buffer_load_dwordx4 a[96:99], v36, s[92:95], 0 offen       // 000000004E98: E05C1000 80976024
	v_mfma_i32_16x16x32_i8 v[224:227], a[36:37], v[196:197], v[224:227]// 000000004EA0: D3D700E0 0F838924
	v_mfma_i32_16x16x32_i8 v[224:227], a[38:39], v[198:199], v[224:227]// 000000004EA8: D3D700E0 0F838D26
	v_mfma_i32_16x16x32_i8 v[224:227], a[40:41], v[200:201], v[224:227]// 000000004EB0: D3D700E0 0F839128
	v_mfma_i32_16x16x32_i8 v[224:227], a[42:43], v[202:203], v[224:227]// 000000004EB8: D3D700E0 0F83952A
	buffer_load_dwordx4 a[100:103], v36, s[92:95], 0 offen offset:1024// 000000004EC0: E05C1400 80976424
	v_mfma_i32_16x16x32_i8 v[224:227], a[44:45], v[204:205], v[224:227]// 000000004EC8: D3D700E0 0F83992C
	v_mfma_i32_16x16x32_i8 v[224:227], a[46:47], v[206:207], v[224:227]// 000000004ED0: D3D700E0 0F839D2E
	v_cvt_f32_i32_e32 v228, v228                               // 000000004ED8: 7FC80BE4
	v_cvt_f32_i32_e32 v229, v229                               // 000000004EDC: 7FCA0BE5
	v_cvt_f32_i32_e32 v230, v230                               // 000000004EE0: 7FCC0BE6
	v_cvt_f32_i32_e32 v231, v231                               // 000000004EE4: 7FCE0BE7
	v_pk_fma_f32 v[140:141], v[228:229], v[234:235], v[140:141]// 000000004EE8: D3B0408C 1E33D5E4
	v_pk_fma_f32 v[142:143], v[230:231], v[234:235], v[142:143]// 000000004EF0: D3B0408E 1E3BD5E6
	v_mfma_i32_16x16x32_i8 v[228:231], a[32:33], v[208:209], 0 // 000000004EF8: D3D700E4 0A03A120
	v_mfma_i32_16x16x32_i8 v[228:231], a[34:35], v[210:211], v[228:231]// 000000004F00: D3D700E4 0F93A522
	buffer_load_dwordx4 a[104:107], v36, s[92:95], 0 offen offset:2048// 000000004F08: E05C1800 80976824
	v_mfma_i32_16x16x32_i8 v[228:231], a[36:37], v[212:213], v[228:231]// 000000004F10: D3D700E4 0F93A924
	v_mfma_i32_16x16x32_i8 v[228:231], a[38:39], v[214:215], v[228:231]// 000000004F18: D3D700E4 0F93AD26
	v_mfma_i32_16x16x32_i8 v[228:231], a[40:41], v[216:217], v[228:231]// 000000004F20: D3D700E4 0F93B128
	v_mfma_i32_16x16x32_i8 v[228:231], a[42:43], v[218:219], v[228:231]// 000000004F28: D3D700E4 0F93B52A
	buffer_load_dwordx4 a[108:111], v36, s[92:95], 0 offen offset:3072// 000000004F30: E05C1C00 80976C24
	v_mfma_i32_16x16x32_i8 v[228:231], a[44:45], v[220:221], v[228:231]// 000000004F38: D3D700E4 0F93B92C
	v_mfma_i32_16x16x32_i8 v[228:231], a[46:47], v[222:223], v[228:231]// 000000004F40: D3D700E4 0F93BD2E
	v_cvt_f32_i32_e32 v224, v224                               // 000000004F48: 7FC00BE0
	v_cvt_f32_i32_e32 v225, v225                               // 000000004F4C: 7FC20BE1
	v_cvt_f32_i32_e32 v226, v226                               // 000000004F50: 7FC40BE2
	v_cvt_f32_i32_e32 v227, v227                               // 000000004F54: 7FC60BE3
	v_pk_fma_f32 v[144:145], v[224:225], v[232:233], v[144:145]// 000000004F58: D3B04090 1E43D1E0
	v_pk_fma_f32 v[146:147], v[226:227], v[232:233], v[146:147]// 000000004F60: D3B04092 1E4BD1E2
	s_waitcnt vmcnt(29)                                        // 000000004F68: BF8C4F7D
	v_mfma_i32_16x16x32_i8 v[224:227], a[48:49], v[192:193], 0 // 000000004F6C: D3D700E0 0A038130
	v_mfma_i32_16x16x32_i8 v[224:227], a[50:51], v[194:195], v[224:227]// 000000004F74: D3D700E0 0F838532
	buffer_load_dwordx4 a[112:115], v37, s[92:95], 0 offen     // 000000004F7C: E05C1000 80977025
	v_mfma_i32_16x16x32_i8 v[224:227], a[52:53], v[196:197], v[224:227]// 000000004F84: D3D700E0 0F838934
	v_mfma_i32_16x16x32_i8 v[224:227], a[54:55], v[198:199], v[224:227]// 000000004F8C: D3D700E0 0F838D36
	v_mfma_i32_16x16x32_i8 v[224:227], a[56:57], v[200:201], v[224:227]// 000000004F94: D3D700E0 0F839138
	v_mfma_i32_16x16x32_i8 v[224:227], a[58:59], v[202:203], v[224:227]// 000000004F9C: D3D700E0 0F83953A
	buffer_load_dwordx4 a[116:119], v37, s[92:95], 0 offen offset:1024// 000000004FA4: E05C1400 80977425
	v_mfma_i32_16x16x32_i8 v[224:227], a[60:61], v[204:205], v[224:227]// 000000004FAC: D3D700E0 0F83993C
	v_mfma_i32_16x16x32_i8 v[224:227], a[62:63], v[206:207], v[224:227]// 000000004FB4: D3D700E0 0F839D3E
	v_cvt_f32_i32_e32 v228, v228                               // 000000004FBC: 7FC80BE4
	v_cvt_f32_i32_e32 v229, v229                               // 000000004FC0: 7FCA0BE5
	v_cvt_f32_i32_e32 v230, v230                               // 000000004FC4: 7FCC0BE6
	v_cvt_f32_i32_e32 v231, v231                               // 000000004FC8: 7FCE0BE7
	v_pk_fma_f32 v[148:149], v[228:229], v[234:235], v[148:149]// 000000004FCC: D3B04094 1E53D5E4
	v_pk_fma_f32 v[150:151], v[230:231], v[234:235], v[150:151]// 000000004FD4: D3B04096 1E5BD5E6
	v_mfma_i32_16x16x32_i8 v[228:231], a[48:49], v[208:209], 0 // 000000004FDC: D3D700E4 0A03A130
	v_mfma_i32_16x16x32_i8 v[228:231], a[50:51], v[210:211], v[228:231]// 000000004FE4: D3D700E4 0F93A532
	buffer_load_dwordx4 a[120:123], v37, s[92:95], 0 offen offset:2048// 000000004FEC: E05C1800 80977825
	v_mfma_i32_16x16x32_i8 v[228:231], a[52:53], v[212:213], v[228:231]// 000000004FF4: D3D700E4 0F93A934
	v_mfma_i32_16x16x32_i8 v[228:231], a[54:55], v[214:215], v[228:231]// 000000004FFC: D3D700E4 0F93AD36
	v_mfma_i32_16x16x32_i8 v[228:231], a[56:57], v[216:217], v[228:231]// 000000005004: D3D700E4 0F93B138
	v_mfma_i32_16x16x32_i8 v[228:231], a[58:59], v[218:219], v[228:231]// 00000000500C: D3D700E4 0F93B53A
	buffer_load_dwordx4 a[124:127], v37, s[92:95], 0 offen offset:3072// 000000005014: E05C1C00 80977C25
	v_mfma_i32_16x16x32_i8 v[228:231], a[60:61], v[220:221], v[228:231]// 00000000501C: D3D700E4 0F93B93C
	v_mfma_i32_16x16x32_i8 v[228:231], a[62:63], v[222:223], v[228:231]// 000000005024: D3D700E4 0F93BD3E
	v_cvt_f32_i32_e32 v224, v224                               // 00000000502C: 7FC00BE0
	v_cvt_f32_i32_e32 v225, v225                               // 000000005030: 7FC20BE1
	v_cvt_f32_i32_e32 v226, v226                               // 000000005034: 7FC40BE2
	v_cvt_f32_i32_e32 v227, v227                               // 000000005038: 7FC60BE3
	v_pk_fma_f32 v[152:153], v[224:225], v[232:233], v[152:153]// 00000000503C: D3B04098 1E63D1E0
	v_pk_fma_f32 v[154:155], v[226:227], v[232:233], v[154:155]// 000000005044: D3B0409A 1E6BD1E2
	v_cvt_f32_i32_e32 v228, v228                               // 00000000504C: 7FC80BE4
	v_cvt_f32_i32_e32 v229, v229                               // 000000005050: 7FCA0BE5
	v_cvt_f32_i32_e32 v230, v230                               // 000000005054: 7FCC0BE6
	v_cvt_f32_i32_e32 v231, v231                               // 000000005058: 7FCE0BE7
	v_pk_fma_f32 v[156:157], v[228:229], v[234:235], v[156:157]// 00000000505C: D3B0409C 1E73D5E4
	v_pk_fma_f32 v[158:159], v[230:231], v[234:235], v[158:159]// 000000005064: D3B0409E 1E7BD5E6
	s_waitcnt vmcnt(8)                                         // 00000000506C: BF8C0F78
	s_barrier                                                  // 000000005070: BF8A0000
	v_mfma_i32_16x16x32_i8 v[224:227], a[64:65], v[192:193], 0 // 000000005074: D3D700E0 0A038140
	ds_read_b64 v[160:161], v2 offset:2048                     // 00000000507C: D8EC0800 A0000002
	ds_read_b64 v[164:165], v2 offset:10368                    // 000000005084: D8EC2880 A4000002
	v_mfma_i32_16x16x32_i8 v[224:227], a[66:67], v[194:195], v[224:227]// 00000000508C: D3D700E0 0F838542
	buffer_load_dwordx4 a[0:3], v34, s[24:27], 0 offen         // 000000005094: E05C1000 80860022
	v_mfma_i32_16x16x32_i8 v[224:227], a[68:69], v[196:197], v[224:227]// 00000000509C: D3D700E0 0F838944
	ds_read_b64 v[168:169], v2 offset:2176                     // 0000000050A4: D8EC0880 A8000002
	ds_read_b64 v[172:173], v2 offset:10496                    // 0000000050AC: D8EC2900 AC000002
	v_mfma_i32_16x16x32_i8 v[224:227], a[70:71], v[198:199], v[224:227]// 0000000050B4: D3D700E0 0F838D46
	v_mfma_i32_16x16x32_i8 v[224:227], a[72:73], v[200:201], v[224:227]// 0000000050BC: D3D700E0 0F839148
	ds_read_b64 v[176:177], v2 offset:2304                     // 0000000050C4: D8EC0900 B0000002
	ds_read_b64 v[180:181], v2 offset:10624                    // 0000000050CC: D8EC2980 B4000002
	v_mfma_i32_16x16x32_i8 v[224:227], a[74:75], v[202:203], v[224:227]// 0000000050D4: D3D700E0 0F83954A
	buffer_load_dwordx4 a[4:7], v34, s[24:27], 0 offen offset:1024// 0000000050DC: E05C1400 80860422
	v_mfma_i32_16x16x32_i8 v[224:227], a[76:77], v[204:205], v[224:227]// 0000000050E4: D3D700E0 0F83994C
	ds_read_b64 v[184:185], v2 offset:2432                     // 0000000050EC: D8EC0980 B8000002
	ds_read_b64 v[188:189], v2 offset:10752                    // 0000000050F4: D8EC2A00 BC000002
	v_mfma_i32_16x16x32_i8 v[224:227], a[78:79], v[206:207], v[224:227]// 0000000050FC: D3D700E0 0F839D4E
	s_waitcnt lgkmcnt(4)                                       // 000000005104: BF8CC47F
	v_and_b32_e32 v163, 0xffff0000, v161                       // 000000005108: 274742FF FFFF0000
	v_lshlrev_b32_e32 v162, 16, v161                           // 000000005110: 25454290
	v_and_b32_e32 v161, 0xffff0000, v160                       // 000000005114: 274340FF FFFF0000
	v_lshlrev_b32_e32 v160, 16, v160                           // 00000000511C: 25414090
	v_and_b32_e32 v167, 0xffff0000, v165                       // 000000005120: 274F4AFF FFFF0000
	v_lshlrev_b32_e32 v166, 16, v165                           // 000000005128: 254D4A90
	v_and_b32_e32 v165, 0xffff0000, v164                       // 00000000512C: 274B48FF FFFF0000
	v_lshlrev_b32_e32 v164, 16, v164                           // 000000005134: 25494890
	v_and_b32_e32 v171, 0xffff0000, v169                       // 000000005138: 275752FF FFFF0000
	v_lshlrev_b32_e32 v170, 16, v169                           // 000000005140: 25555290
	v_and_b32_e32 v169, 0xffff0000, v168                       // 000000005144: 275350FF FFFF0000
	v_lshlrev_b32_e32 v168, 16, v168                           // 00000000514C: 25515090
	v_and_b32_e32 v175, 0xffff0000, v173                       // 000000005150: 275F5AFF FFFF0000
	v_lshlrev_b32_e32 v174, 16, v173                           // 000000005158: 255D5A90
	v_and_b32_e32 v173, 0xffff0000, v172                       // 00000000515C: 275B58FF FFFF0000
	v_lshlrev_b32_e32 v172, 16, v172                           // 000000005164: 25595890
	v_mul_f32_dpp v160, v13, v160 row_newbcast:0 row_mask:0xf bank_mask:0xf// 000000005168: 0B4140FA FF01500D
	v_mul_f32_dpp v161, v13, v161 row_newbcast:1 row_mask:0xf bank_mask:0xf// 000000005170: 0B4342FA FF01510D
	v_mul_f32_dpp v162, v13, v162 row_newbcast:2 row_mask:0xf bank_mask:0xf// 000000005178: 0B4544FA FF01520D
	v_mul_f32_dpp v163, v13, v163 row_newbcast:3 row_mask:0xf bank_mask:0xf// 000000005180: 0B4746FA FF01530D
	v_mul_f32_dpp v164, v13, v164 row_newbcast:0 row_mask:0xf bank_mask:0xf// 000000005188: 0B4948FA FF01500D
	v_mul_f32_dpp v165, v13, v165 row_newbcast:1 row_mask:0xf bank_mask:0xf// 000000005190: 0B4B4AFA FF01510D
	v_mul_f32_dpp v166, v13, v166 row_newbcast:2 row_mask:0xf bank_mask:0xf// 000000005198: 0B4D4CFA FF01520D
	v_mul_f32_dpp v167, v13, v167 row_newbcast:3 row_mask:0xf bank_mask:0xf// 0000000051A0: 0B4F4EFA FF01530D
	v_mul_f32_dpp v168, v13, v168 row_newbcast:4 row_mask:0xf bank_mask:0xf// 0000000051A8: 0B5150FA FF01540D
	v_mul_f32_dpp v169, v13, v169 row_newbcast:5 row_mask:0xf bank_mask:0xf// 0000000051B0: 0B5352FA FF01550D
	v_mul_f32_dpp v170, v13, v170 row_newbcast:6 row_mask:0xf bank_mask:0xf// 0000000051B8: 0B5554FA FF01560D
	v_mul_f32_dpp v171, v13, v171 row_newbcast:7 row_mask:0xf bank_mask:0xf// 0000000051C0: 0B5756FA FF01570D
	v_mul_f32_dpp v172, v13, v172 row_newbcast:4 row_mask:0xf bank_mask:0xf// 0000000051C8: 0B5958FA FF01540D
	v_mul_f32_dpp v173, v13, v173 row_newbcast:5 row_mask:0xf bank_mask:0xf// 0000000051D0: 0B5B5AFA FF01550D
	v_mul_f32_dpp v174, v13, v174 row_newbcast:6 row_mask:0xf bank_mask:0xf// 0000000051D8: 0B5D5CFA FF01560D
	v_mul_f32_dpp v175, v13, v175 row_newbcast:7 row_mask:0xf bank_mask:0xf// 0000000051E0: 0B5F5EFA FF01570D
	s_waitcnt lgkmcnt(0)                                       // 0000000051E8: BF8CC07F
	v_and_b32_e32 v179, 0xffff0000, v177                       // 0000000051EC: 276762FF FFFF0000
	v_lshlrev_b32_e32 v178, 16, v177                           // 0000000051F4: 25656290
	v_and_b32_e32 v177, 0xffff0000, v176                       // 0000000051F8: 276360FF FFFF0000
	v_lshlrev_b32_e32 v176, 16, v176                           // 000000005200: 25616090
	v_and_b32_e32 v183, 0xffff0000, v181                       // 000000005204: 276F6AFF FFFF0000
	v_lshlrev_b32_e32 v182, 16, v181                           // 00000000520C: 256D6A90
	v_and_b32_e32 v181, 0xffff0000, v180                       // 000000005210: 276B68FF FFFF0000
	v_lshlrev_b32_e32 v180, 16, v180                           // 000000005218: 25696890
	v_and_b32_e32 v187, 0xffff0000, v185                       // 00000000521C: 277772FF FFFF0000
	v_lshlrev_b32_e32 v186, 16, v185                           // 000000005224: 25757290
	v_and_b32_e32 v185, 0xffff0000, v184                       // 000000005228: 277370FF FFFF0000
	v_lshlrev_b32_e32 v184, 16, v184                           // 000000005230: 25717090
	v_and_b32_e32 v191, 0xffff0000, v189                       // 000000005234: 277F7AFF FFFF0000
	v_lshlrev_b32_e32 v190, 16, v189                           // 00000000523C: 257D7A90
	v_and_b32_e32 v189, 0xffff0000, v188                       // 000000005240: 277B78FF FFFF0000
	v_lshlrev_b32_e32 v188, 16, v188                           // 000000005248: 25797890
	v_mul_f32_dpp v176, v13, v176 row_newbcast:8 row_mask:0xf bank_mask:0xf// 00000000524C: 0B6160FA FF01580D
	v_mul_f32_dpp v177, v13, v177 row_newbcast:9 row_mask:0xf bank_mask:0xf// 000000005254: 0B6362FA FF01590D
	v_mul_f32_dpp v178, v13, v178 row_newbcast:10 row_mask:0xf bank_mask:0xf// 00000000525C: 0B6564FA FF015A0D
	v_mul_f32_dpp v179, v13, v179 row_newbcast:11 row_mask:0xf bank_mask:0xf// 000000005264: 0B6766FA FF015B0D
	v_mul_f32_dpp v180, v13, v180 row_newbcast:8 row_mask:0xf bank_mask:0xf// 00000000526C: 0B6968FA FF01580D
	v_mul_f32_dpp v181, v13, v181 row_newbcast:9 row_mask:0xf bank_mask:0xf// 000000005274: 0B6B6AFA FF01590D
	v_mul_f32_dpp v182, v13, v182 row_newbcast:10 row_mask:0xf bank_mask:0xf// 00000000527C: 0B6D6CFA FF015A0D
	v_mul_f32_dpp v183, v13, v183 row_newbcast:11 row_mask:0xf bank_mask:0xf// 000000005284: 0B6F6EFA FF015B0D
	v_mul_f32_dpp v184, v13, v184 row_newbcast:12 row_mask:0xf bank_mask:0xf// 00000000528C: 0B7170FA FF015C0D
	v_mul_f32_dpp v185, v13, v185 row_newbcast:13 row_mask:0xf bank_mask:0xf// 000000005294: 0B7372FA FF015D0D
	v_mul_f32_dpp v186, v13, v186 row_newbcast:14 row_mask:0xf bank_mask:0xf// 00000000529C: 0B7574FA FF015E0D
	v_mul_f32_dpp v187, v13, v187 row_newbcast:15 row_mask:0xf bank_mask:0xf// 0000000052A4: 0B7776FA FF015F0D
	v_mul_f32_dpp v188, v13, v188 row_newbcast:12 row_mask:0xf bank_mask:0xf// 0000000052AC: 0B7978FA FF015C0D
	v_mul_f32_dpp v189, v13, v189 row_newbcast:13 row_mask:0xf bank_mask:0xf// 0000000052B4: 0B7B7AFA FF015D0D
	v_mul_f32_dpp v190, v13, v190 row_newbcast:14 row_mask:0xf bank_mask:0xf// 0000000052BC: 0B7D7CFA FF015E0D
	v_mul_f32_dpp v191, v13, v191 row_newbcast:15 row_mask:0xf bank_mask:0xf// 0000000052C4: 0B7F7EFA FF015F0D
	v_mfma_i32_16x16x32_i8 v[228:231], a[64:65], v[208:209], 0 // 0000000052CC: D3D700E4 0A03A140
	v_mfma_i32_16x16x32_i8 v[228:231], a[66:67], v[210:211], v[228:231]// 0000000052D4: D3D700E4 0F93A542
	buffer_load_dwordx4 a[8:11], v34, s[24:27], 0 offen offset:2048// 0000000052DC: E05C1800 80860822
	v_mov_b32_e32 v42, 0x358637bd                              // 0000000052E4: 7E5402FF 358637BD
	v_mov_b32_e32 v43, 0x358637bd                              // 0000000052EC: 7E5602FF 358637BD
	v_max3_f32 v42, |v160|, |v161|, v42                        // 0000000052F4: D1D3032A 04AB43A0
	v_max3_f32 v42, |v162|, |v163|, v42                        // 0000000052FC: D1D3032A 04AB47A2
	v_max3_f32 v43, |v164|, |v165|, v43                        // 000000005304: D1D3032B 04AF4BA4
	v_max3_f32 v43, |v166|, |v167|, v43                        // 00000000530C: D1D3032B 04AF4FA6
	v_max3_f32 v42, |v168|, |v169|, v42                        // 000000005314: D1D3032A 04AB53A8
	v_max3_f32 v42, |v170|, |v171|, v42                        // 00000000531C: D1D3032A 04AB57AA
	v_max3_f32 v43, |v172|, |v173|, v43                        // 000000005324: D1D3032B 04AF5BAC
	v_max3_f32 v43, |v174|, |v175|, v43                        // 00000000532C: D1D3032B 04AF5FAE
	v_max3_f32 v42, |v176|, |v177|, v42                        // 000000005334: D1D3032A 04AB63B0
	v_max3_f32 v42, |v178|, |v179|, v42                        // 00000000533C: D1D3032A 04AB67B2
	v_max3_f32 v43, |v180|, |v181|, v43                        // 000000005344: D1D3032B 04AF6BB4
	v_max3_f32 v43, |v182|, |v183|, v43                        // 00000000534C: D1D3032B 04AF6FB6
	v_max3_f32 v42, |v184|, |v185|, v42                        // 000000005354: D1D3032A 04AB73B8
	v_max3_f32 v42, |v186|, |v187|, v42                        // 00000000535C: D1D3032A 04AB77BA
	v_max3_f32 v43, |v188|, |v189|, v43                        // 000000005364: D1D3032B 04AF7BBC
	v_max3_f32 v43, |v190|, |v191|, v43                        // 00000000536C: D1D3032B 04AF7FBE
	v_mfma_i32_16x16x32_i8 v[228:231], a[68:69], v[212:213], v[228:231]// 000000005374: D3D700E4 0F93A944
	ds_write_b64 v3, v[42:43]                                  // 00000000537C: D89A0000 00002A03
	v_mfma_i32_16x16x32_i8 v[228:231], a[70:71], v[214:215], v[228:231]// 000000005384: D3D700E4 0F93AD46
	v_mfma_i32_16x16x32_i8 v[228:231], a[72:73], v[216:217], v[228:231]// 00000000538C: D3D700E4 0F93B148
	v_mfma_i32_16x16x32_i8 v[228:231], a[74:75], v[218:219], v[228:231]// 000000005394: D3D700E4 0F93B54A
	buffer_load_dwordx4 a[12:15], v34, s[24:27], 0 offen offset:3072// 00000000539C: E05C1C00 80860C22
	s_waitcnt lgkmcnt(0)                                       // 0000000053A4: BF8CC07F
	s_barrier                                                  // 0000000053A8: BF8A0000
	v_mfma_i32_16x16x32_i8 v[228:231], a[76:77], v[220:221], v[228:231]// 0000000053AC: D3D700E4 0F93B94C
	ds_read_b64 v[42:43], v4                                   // 0000000053B4: D8EC0000 2A000004
	ds_read_b64 v[44:45], v4 offset:128                        // 0000000053BC: D8EC0080 2C000004
	v_mfma_i32_16x16x32_i8 v[228:231], a[78:79], v[222:223], v[228:231]// 0000000053C4: D3D700E4 0F93BD4E
	v_cvt_f32_i32_e32 v224, v224                               // 0000000053CC: 7FC00BE0
	v_cvt_f32_i32_e32 v225, v225                               // 0000000053D0: 7FC20BE1
	v_cvt_f32_i32_e32 v226, v226                               // 0000000053D4: 7FC40BE2
	v_cvt_f32_i32_e32 v227, v227                               // 0000000053D8: 7FC60BE3
	v_pk_fma_f32 v[64:65], v[224:225], v[232:233], v[64:65]    // 0000000053DC: D3B04040 1D03D1E0
	v_pk_fma_f32 v[66:67], v[226:227], v[232:233], v[66:67]    // 0000000053E4: D3B04042 1D0BD1E2
	v_mfma_i32_16x16x32_i8 v[224:227], a[80:81], v[192:193], 0 // 0000000053EC: D3D700E0 0A038150
	ds_read_b64 v[46:47], v4 offset:256                        // 0000000053F4: D8EC0100 2E000004
	ds_read_b64 v[48:49], v4 offset:384                        // 0000000053FC: D8EC0180 30000004
	v_mfma_i32_16x16x32_i8 v[224:227], a[82:83], v[194:195], v[224:227]// 000000005404: D3D700E0 0F838552
	buffer_load_dwordx4 a[16:19], v35, s[24:27], 0 offen       // 00000000540C: E05C1000 80861023
	v_mfma_i32_16x16x32_i8 v[224:227], a[84:85], v[196:197], v[224:227]// 000000005414: D3D700E0 0F838954
	ds_read_b64 v[50:51], v4 offset:512                        // 00000000541C: D8EC0200 32000004
	ds_read_b64 v[52:53], v4 offset:640                        // 000000005424: D8EC0280 34000004
	v_mfma_i32_16x16x32_i8 v[224:227], a[86:87], v[198:199], v[224:227]// 00000000542C: D3D700E0 0F838D56
	v_mfma_i32_16x16x32_i8 v[224:227], a[88:89], v[200:201], v[224:227]// 000000005434: D3D700E0 0F839158
	ds_read_b64 v[54:55], v4 offset:768                        // 00000000543C: D8EC0300 36000004
	ds_read_b64 v[56:57], v4 offset:896                        // 000000005444: D8EC0380 38000004
	v_mfma_i32_16x16x32_i8 v[224:227], a[90:91], v[202:203], v[224:227]// 00000000544C: D3D700E0 0F83955A
	buffer_load_dwordx4 a[20:23], v35, s[24:27], 0 offen offset:1024// 000000005454: E05C1400 80861423
	v_mfma_i32_16x16x32_i8 v[224:227], a[92:93], v[204:205], v[224:227]// 00000000545C: D3D700E0 0F83995C
	v_mfma_i32_16x16x32_i8 v[224:227], a[94:95], v[206:207], v[224:227]// 000000005464: D3D700E0 0F839D5E
	s_waitcnt lgkmcnt(0)                                       // 00000000546C: BF8CC07F
	v_mov_b32_e32 v20, 0x358637bd                              // 000000005470: 7E2802FF 358637BD
	v_mov_b32_e32 v21, 0x358637bd                              // 000000005478: 7E2A02FF 358637BD
	v_max3_f32 v20, |v42|, |v44|, v20                          // 000000005480: D1D30314 0452592A
	v_max3_f32 v21, |v43|, |v45|, v21                          // 000000005488: D1D30315 04565B2B
	v_max3_f32 v20, |v46|, |v48|, v20                          // 000000005490: D1D30314 0452612E
	v_max3_f32 v21, |v47|, |v49|, v21                          // 000000005498: D1D30315 0456632F
	v_max3_f32 v20, |v50|, |v52|, v20                          // 0000000054A0: D1D30314 04526932
	v_max3_f32 v21, |v51|, |v53|, v21                          // 0000000054A8: D1D30315 04566B33
	v_max3_f32 v20, |v54|, |v56|, v20                          // 0000000054B0: D1D30314 04527136
	v_max3_f32 v21, |v55|, |v57|, v21                          // 0000000054B8: D1D30315 04567337
	v_cvt_f32_i32_e32 v228, v228                               // 0000000054C0: 7FC80BE4
	v_cvt_f32_i32_e32 v229, v229                               // 0000000054C4: 7FCA0BE5
	v_cvt_f32_i32_e32 v230, v230                               // 0000000054C8: 7FCC0BE6
	v_cvt_f32_i32_e32 v231, v231                               // 0000000054CC: 7FCE0BE7
	v_pk_fma_f32 v[68:69], v[228:229], v[234:235], v[68:69]    // 0000000054D0: D3B04044 1D13D5E4
	v_pk_fma_f32 v[70:71], v[230:231], v[234:235], v[70:71]    // 0000000054D8: D3B04046 1D1BD5E6
	v_mfma_i32_16x16x32_i8 v[228:231], a[80:81], v[208:209], 0 // 0000000054E0: D3D700E4 0A03A150
	ds_read_b64 v[42:43], v4 offset:1024                       // 0000000054E8: D8EC0400 2A000004
	ds_read_b64 v[44:45], v4 offset:1152                       // 0000000054F0: D8EC0480 2C000004
	v_mfma_i32_16x16x32_i8 v[228:231], a[82:83], v[210:211], v[228:231]// 0000000054F8: D3D700E4 0F93A552
	buffer_load_dwordx4 a[24:27], v35, s[24:27], 0 offen offset:2048// 000000005500: E05C1800 80861823
	v_mfma_i32_16x16x32_i8 v[228:231], a[84:85], v[212:213], v[228:231]// 000000005508: D3D700E4 0F93A954
	ds_read_b64 v[46:47], v4 offset:1280                       // 000000005510: D8EC0500 2E000004
	ds_read_b64 v[48:49], v4 offset:1408                       // 000000005518: D8EC0580 30000004
	v_mfma_i32_16x16x32_i8 v[228:231], a[86:87], v[214:215], v[228:231]// 000000005520: D3D700E4 0F93AD56
	v_mfma_i32_16x16x32_i8 v[228:231], a[88:89], v[216:217], v[228:231]// 000000005528: D3D700E4 0F93B158
	ds_read_b64 v[50:51], v4 offset:1536                       // 000000005530: D8EC0600 32000004
	ds_read_b64 v[52:53], v4 offset:1664                       // 000000005538: D8EC0680 34000004
	v_mfma_i32_16x16x32_i8 v[228:231], a[90:91], v[218:219], v[228:231]// 000000005540: D3D700E4 0F93B55A
	buffer_load_dwordx4 a[28:31], v35, s[24:27], 0 offen offset:3072// 000000005548: E05C1C00 80861C23
	v_mfma_i32_16x16x32_i8 v[228:231], a[92:93], v[220:221], v[228:231]// 000000005550: D3D700E4 0F93B95C
	ds_read_b64 v[54:55], v4 offset:1792                       // 000000005558: D8EC0700 36000004
	ds_read_b64 v[56:57], v4 offset:1920                       // 000000005560: D8EC0780 38000004
	v_mfma_i32_16x16x32_i8 v[228:231], a[94:95], v[222:223], v[228:231]// 000000005568: D3D700E4 0F93BD5E
	v_cvt_f32_i32_e32 v224, v224                               // 000000005570: 7FC00BE0
	v_cvt_f32_i32_e32 v225, v225                               // 000000005574: 7FC20BE1
	v_cvt_f32_i32_e32 v226, v226                               // 000000005578: 7FC40BE2
	v_cvt_f32_i32_e32 v227, v227                               // 00000000557C: 7FC60BE3
	v_pk_fma_f32 v[72:73], v[224:225], v[232:233], v[72:73]    // 000000005580: D3B04048 1D23D1E0
	v_pk_fma_f32 v[74:75], v[226:227], v[232:233], v[74:75]    // 000000005588: D3B0404A 1D2BD1E2
	s_waitcnt vmcnt(12)                                        // 000000005590: BF8C0F7C
	v_mfma_i32_16x16x32_i8 v[224:227], a[96:97], v[192:193], 0 // 000000005594: D3D700E0 0A038160
	v_mfma_i32_16x16x32_i8 v[224:227], a[98:99], v[194:195], v[224:227]// 00000000559C: D3D700E0 0F838562
	buffer_load_dwordx4 a[32:35], v36, s[24:27], 0 offen       // 0000000055A4: E05C1000 80862024
	s_waitcnt lgkmcnt(0)                                       // 0000000055AC: BF8CC07F
	v_max3_f32 v20, |v42|, |v44|, v20                          // 0000000055B0: D1D30314 0452592A
	v_max3_f32 v21, |v43|, |v45|, v21                          // 0000000055B8: D1D30315 04565B2B
	v_max3_f32 v20, |v46|, |v48|, v20                          // 0000000055C0: D1D30314 0452612E
	v_max3_f32 v21, |v47|, |v49|, v21                          // 0000000055C8: D1D30315 0456632F
	v_max3_f32 v20, |v50|, |v52|, v20                          // 0000000055D0: D1D30314 04526932
	v_max3_f32 v21, |v51|, |v53|, v21                          // 0000000055D8: D1D30315 04566B33
	v_max3_f32 v20, |v54|, |v56|, v20                          // 0000000055E0: D1D30314 04527136
	v_max3_f32 v21, |v55|, |v57|, v21                          // 0000000055E8: D1D30315 04567337
	v_mov_b32_e32 v38, 0x42fe0000                              // 0000000055F0: 7E4C02FF 42FE0000
	v_rcp_f32_e32 v20, v20                                     // 0000000055F8: 7E284514
	v_rcp_f32_e32 v21, v21                                     // 0000000055FC: 7E2A4515
	s_nop 1                                                    // 000000005600: BF800001
	v_mul_f32_e32 v20, v38, v20                                // 000000005604: 0A282926
	v_mul_f32_e32 v21, v38, v21                                // 000000005608: 0A2A2B26
	v_rcp_f32_e32 v22, v20                                     // 00000000560C: 7E2C4514
	v_rcp_f32_e32 v23, v21                                     // 000000005610: 7E2E4515
	v_mov_b32_e32 v38, v20                                     // 000000005614: 7E4C0314
	v_mov_b32_e32 v39, v20                                     // 000000005618: 7E4E0314
	v_mov_b32_e32 v40, v21                                     // 00000000561C: 7E500315
	v_mov_b32_e32 v41, v21                                     // 000000005620: 7E520315
	v_pk_mul_f32 v[160:161], v[38:39], v[160:161]              // 000000005624: D3B140A0 18034126
	v_pk_mul_f32 v[162:163], v[38:39], v[162:163]              // 00000000562C: D3B140A2 18034526
	v_cvt_i32_f32_e32 v160, v160                               // 000000005634: 7F4011A0
	v_cvt_i32_f32_e32 v161, v161                               // 000000005638: 7F4211A1
	v_cvt_i32_f32_e32 v162, v162                               // 00000000563C: 7F4411A2
	v_cvt_i32_f32_e32 v163, v163                               // 000000005640: 7F4611A3
	v_perm_b32 v160, v161, v160, s53                           // 000000005644: D1ED00A0 00D741A1
	v_perm_b32 v160, v162, v160, s54                           // 00000000564C: D1ED00A0 00DB41A2
	v_perm_b32 v160, v163, v160, s55                           // 000000005654: D1ED00A0 00DF41A3
	v_pk_mul_f32 v[164:165], v[40:41], v[164:165]              // 00000000565C: D3B140A4 18034928
	v_pk_mul_f32 v[166:167], v[40:41], v[166:167]              // 000000005664: D3B140A6 18034D28
	v_cvt_i32_f32_e32 v164, v164                               // 00000000566C: 7F4811A4
	v_cvt_i32_f32_e32 v165, v165                               // 000000005670: 7F4A11A5
	v_cvt_i32_f32_e32 v166, v166                               // 000000005674: 7F4C11A6
	v_cvt_i32_f32_e32 v167, v167                               // 000000005678: 7F4E11A7
	v_perm_b32 v161, v165, v164, s53                           // 00000000567C: D1ED00A1 00D749A5
	v_perm_b32 v161, v166, v161, s54                           // 000000005684: D1ED00A1 00DB43A6
	v_perm_b32 v161, v167, v161, s55                           // 00000000568C: D1ED00A1 00DF43A7
	v_pk_mul_f32 v[168:169], v[38:39], v[168:169]              // 000000005694: D3B140A8 18035126
	v_pk_mul_f32 v[170:171], v[38:39], v[170:171]              // 00000000569C: D3B140AA 18035526
	v_cvt_i32_f32_e32 v168, v168                               // 0000000056A4: 7F5011A8
	v_cvt_i32_f32_e32 v169, v169                               // 0000000056A8: 7F5211A9
	v_cvt_i32_f32_e32 v170, v170                               // 0000000056AC: 7F5411AA
	v_cvt_i32_f32_e32 v171, v171                               // 0000000056B0: 7F5611AB
	v_perm_b32 v162, v169, v168, s53                           // 0000000056B4: D1ED00A2 00D751A9
	v_perm_b32 v162, v170, v162, s54                           // 0000000056BC: D1ED00A2 00DB45AA
	v_perm_b32 v162, v171, v162, s55                           // 0000000056C4: D1ED00A2 00DF45AB
	v_pk_mul_f32 v[172:173], v[40:41], v[172:173]              // 0000000056CC: D3B140AC 18035928
	v_pk_mul_f32 v[174:175], v[40:41], v[174:175]              // 0000000056D4: D3B140AE 18035D28
	v_cvt_i32_f32_e32 v172, v172                               // 0000000056DC: 7F5811AC
	v_cvt_i32_f32_e32 v173, v173                               // 0000000056E0: 7F5A11AD
	v_cvt_i32_f32_e32 v174, v174                               // 0000000056E4: 7F5C11AE
	v_cvt_i32_f32_e32 v175, v175                               // 0000000056E8: 7F5E11AF
	v_perm_b32 v163, v173, v172, s53                           // 0000000056EC: D1ED00A3 00D759AD
	v_perm_b32 v163, v174, v163, s54                           // 0000000056F4: D1ED00A3 00DB47AE
	v_perm_b32 v163, v175, v163, s55                           // 0000000056FC: D1ED00A3 00DF47AF
	v_pk_mul_f32 v[176:177], v[38:39], v[176:177]              // 000000005704: D3B140B0 18036126
	v_pk_mul_f32 v[178:179], v[38:39], v[178:179]              // 00000000570C: D3B140B2 18036526
	v_cvt_i32_f32_e32 v176, v176                               // 000000005714: 7F6011B0
	v_cvt_i32_f32_e32 v177, v177                               // 000000005718: 7F6211B1
	v_cvt_i32_f32_e32 v178, v178                               // 00000000571C: 7F6411B2
	v_cvt_i32_f32_e32 v179, v179                               // 000000005720: 7F6611B3
	v_perm_b32 v164, v177, v176, s53                           // 000000005724: D1ED00A4 00D761B1
	v_perm_b32 v164, v178, v164, s54                           // 00000000572C: D1ED00A4 00DB49B2
	v_perm_b32 v164, v179, v164, s55                           // 000000005734: D1ED00A4 00DF49B3
	v_pk_mul_f32 v[180:181], v[40:41], v[180:181]              // 00000000573C: D3B140B4 18036928
	v_pk_mul_f32 v[182:183], v[40:41], v[182:183]              // 000000005744: D3B140B6 18036D28
	v_cvt_i32_f32_e32 v180, v180                               // 00000000574C: 7F6811B4
	v_cvt_i32_f32_e32 v181, v181                               // 000000005750: 7F6A11B5
	v_cvt_i32_f32_e32 v182, v182                               // 000000005754: 7F6C11B6
	v_cvt_i32_f32_e32 v183, v183                               // 000000005758: 7F6E11B7
	v_perm_b32 v165, v181, v180, s53                           // 00000000575C: D1ED00A5 00D769B5
	v_perm_b32 v165, v182, v165, s54                           // 000000005764: D1ED00A5 00DB4BB6
	v_perm_b32 v165, v183, v165, s55                           // 00000000576C: D1ED00A5 00DF4BB7
	v_pk_mul_f32 v[184:185], v[38:39], v[184:185]              // 000000005774: D3B140B8 18037126
	v_pk_mul_f32 v[186:187], v[38:39], v[186:187]              // 00000000577C: D3B140BA 18037526
	v_cvt_i32_f32_e32 v184, v184                               // 000000005784: 7F7011B8
	v_cvt_i32_f32_e32 v185, v185                               // 000000005788: 7F7211B9
	v_cvt_i32_f32_e32 v186, v186                               // 00000000578C: 7F7411BA
	v_cvt_i32_f32_e32 v187, v187                               // 000000005790: 7F7611BB
	v_perm_b32 v166, v185, v184, s53                           // 000000005794: D1ED00A6 00D771B9
	v_perm_b32 v166, v186, v166, s54                           // 00000000579C: D1ED00A6 00DB4DBA
	v_perm_b32 v166, v187, v166, s55                           // 0000000057A4: D1ED00A6 00DF4DBB
	v_pk_mul_f32 v[188:189], v[40:41], v[188:189]              // 0000000057AC: D3B140BC 18037928
	v_pk_mul_f32 v[190:191], v[40:41], v[190:191]              // 0000000057B4: D3B140BE 18037D28
	v_cvt_i32_f32_e32 v188, v188                               // 0000000057BC: 7F7811BC
	v_cvt_i32_f32_e32 v189, v189                               // 0000000057C0: 7F7A11BD
	v_cvt_i32_f32_e32 v190, v190                               // 0000000057C4: 7F7C11BE
	v_cvt_i32_f32_e32 v191, v191                               // 0000000057C8: 7F7E11BF
	v_perm_b32 v167, v189, v188, s53                           // 0000000057CC: D1ED00A7 00D779BD
	v_perm_b32 v167, v190, v167, s54                           // 0000000057D4: D1ED00A7 00DB4FBE
	v_perm_b32 v167, v191, v167, s55                           // 0000000057DC: D1ED00A7 00DF4FBF
	v_mfma_i32_16x16x32_i8 v[224:227], a[100:101], v[196:197], v[224:227]// 0000000057E4: D3D700E0 0F838964
	ds_write_b32 v11, v160 offset:2048                         // 0000000057EC: D81A0800 0000A00B
	ds_write_b32 v11, v161 offset:6144                         // 0000000057F4: D81A1800 0000A10B
	v_mfma_i32_16x16x32_i8 v[224:227], a[102:103], v[198:199], v[224:227]// 0000000057FC: D3D700E0 0F838D66
	v_mfma_i32_16x16x32_i8 v[224:227], a[104:105], v[200:201], v[224:227]// 000000005804: D3D700E0 0F839168
	ds_write_b32 v11, v162 offset:3072                         // 00000000580C: D81A0C00 0000A20B
	ds_write_b32 v11, v163 offset:7168                         // 000000005814: D81A1C00 0000A30B
	v_mfma_i32_16x16x32_i8 v[224:227], a[106:107], v[202:203], v[224:227]// 00000000581C: D3D700E0 0F83956A
	buffer_load_dwordx4 a[36:39], v36, s[24:27], 0 offen offset:1024// 000000005824: E05C1400 80862424
	v_mfma_i32_16x16x32_i8 v[224:227], a[108:109], v[204:205], v[224:227]// 00000000582C: D3D700E0 0F83996C
	ds_write_b32 v11, v164 offset:4096                         // 000000005834: D81A1000 0000A40B
	ds_write_b32 v11, v165 offset:8192                         // 00000000583C: D81A2000 0000A50B
	v_mfma_i32_16x16x32_i8 v[224:227], a[110:111], v[206:207], v[224:227]// 000000005844: D3D700E0 0F839D6E
	v_cvt_f32_i32_e32 v228, v228                               // 00000000584C: 7FC80BE4
	v_cvt_f32_i32_e32 v229, v229                               // 000000005850: 7FCA0BE5
	v_cvt_f32_i32_e32 v230, v230                               // 000000005854: 7FCC0BE6
	v_cvt_f32_i32_e32 v231, v231                               // 000000005858: 7FCE0BE7
	v_pk_fma_f32 v[76:77], v[228:229], v[234:235], v[76:77]    // 00000000585C: D3B0404C 1D33D5E4
	v_pk_fma_f32 v[78:79], v[230:231], v[234:235], v[78:79]    // 000000005864: D3B0404E 1D3BD5E6
	v_mfma_i32_16x16x32_i8 v[228:231], a[96:97], v[208:209], 0 // 00000000586C: D3D700E4 0A03A160
	ds_write_b32 v11, v166 offset:5120                         // 000000005874: D81A1400 0000A60B
	ds_write_b32 v11, v167 offset:9216                         // 00000000587C: D81A2400 0000A70B
	v_mfma_i32_16x16x32_i8 v[228:231], a[98:99], v[210:211], v[228:231]// 000000005884: D3D700E4 0F93A562
	buffer_load_dwordx4 a[40:43], v36, s[24:27], 0 offen offset:2048// 00000000588C: E05C1800 80862824
	v_mfma_i32_16x16x32_i8 v[228:231], a[100:101], v[212:213], v[228:231]// 000000005894: D3D700E4 0F93A964
	v_mfma_i32_16x16x32_i8 v[228:231], a[102:103], v[214:215], v[228:231]// 00000000589C: D3D700E4 0F93AD66
	v_mfma_i32_16x16x32_i8 v[228:231], a[104:105], v[216:217], v[228:231]// 0000000058A4: D3D700E4 0F93B168
	v_mfma_i32_16x16x32_i8 v[228:231], a[106:107], v[218:219], v[228:231]// 0000000058AC: D3D700E4 0F93B56A
	buffer_load_dwordx4 a[44:47], v36, s[24:27], 0 offen offset:3072// 0000000058B4: E05C1C00 80862C24
	v_mfma_i32_16x16x32_i8 v[228:231], a[108:109], v[220:221], v[228:231]// 0000000058BC: D3D700E4 0F93B96C
	v_mfma_i32_16x16x32_i8 v[228:231], a[110:111], v[222:223], v[228:231]// 0000000058C4: D3D700E4 0F93BD6E
	s_waitcnt lgkmcnt(0)                                       // 0000000058CC: BF8CC07F
	s_barrier                                                  // 0000000058D0: BF8A0000
	v_cvt_f32_i32_e32 v224, v224                               // 0000000058D4: 7FC00BE0
	v_cvt_f32_i32_e32 v225, v225                               // 0000000058D8: 7FC20BE1
	v_cvt_f32_i32_e32 v226, v226                               // 0000000058DC: 7FC40BE2
	v_cvt_f32_i32_e32 v227, v227                               // 0000000058E0: 7FC60BE3
	v_pk_fma_f32 v[80:81], v[224:225], v[232:233], v[80:81]    // 0000000058E4: D3B04050 1D43D1E0
	v_pk_fma_f32 v[82:83], v[226:227], v[232:233], v[82:83]    // 0000000058EC: D3B04052 1D4BD1E2
	s_waitcnt vmcnt(12)                                        // 0000000058F4: BF8C0F7C
	v_mfma_i32_16x16x32_i8 v[224:227], a[112:113], v[192:193], 0// 0000000058F8: D3D700E0 0A038170
	ds_read_b64 v[160:161], v12 offset:2048                    // 000000005900: D8EC0800 A000000C
	ds_read_b64 v[162:163], v12 offset:2176                    // 000000005908: D8EC0880 A200000C
	v_mfma_i32_16x16x32_i8 v[224:227], a[114:115], v[194:195], v[224:227]// 000000005910: D3D700E0 0F838572
	buffer_load_dwordx4 a[48:51], v37, s[24:27], 0 offen       // 000000005918: E05C1000 80863025
	v_mfma_i32_16x16x32_i8 v[224:227], a[116:117], v[196:197], v[224:227]// 000000005920: D3D700E0 0F838974
	ds_read_b64 v[164:165], v12 offset:3072                    // 000000005928: D8EC0C00 A400000C
	ds_read_b64 v[166:167], v12 offset:3200                    // 000000005930: D8EC0C80 A600000C
	v_mfma_i32_16x16x32_i8 v[224:227], a[118:119], v[198:199], v[224:227]// 000000005938: D3D700E0 0F838D76
	v_mfma_i32_16x16x32_i8 v[224:227], a[120:121], v[200:201], v[224:227]// 000000005940: D3D700E0 0F839178
	ds_read_b64 v[168:169], v12 offset:4096                    // 000000005948: D8EC1000 A800000C
	ds_read_b64 v[170:171], v12 offset:4224                    // 000000005950: D8EC1080 AA00000C
	v_mfma_i32_16x16x32_i8 v[224:227], a[122:123], v[202:203], v[224:227]// 000000005958: D3D700E0 0F83957A
	buffer_load_dwordx4 a[52:55], v37, s[24:27], 0 offen offset:1024// 000000005960: E05C1400 80863425
	v_mfma_i32_16x16x32_i8 v[224:227], a[124:125], v[204:205], v[224:227]// 000000005968: D3D700E0 0F83997C
	ds_read_b64 v[172:173], v12 offset:5120                    // 000000005970: D8EC1400 AC00000C
	ds_read_b64 v[174:175], v12 offset:5248                    // 000000005978: D8EC1480 AE00000C
	v_mfma_i32_16x16x32_i8 v[224:227], a[126:127], v[206:207], v[224:227]// 000000005980: D3D700E0 0F839D7E
	v_cvt_f32_i32_e32 v228, v228                               // 000000005988: 7FC80BE4
	v_cvt_f32_i32_e32 v229, v229                               // 00000000598C: 7FCA0BE5
	v_cvt_f32_i32_e32 v230, v230                               // 000000005990: 7FCC0BE6
	v_cvt_f32_i32_e32 v231, v231                               // 000000005994: 7FCE0BE7
	v_pk_fma_f32 v[84:85], v[228:229], v[234:235], v[84:85]    // 000000005998: D3B04054 1D53D5E4
	v_pk_fma_f32 v[86:87], v[230:231], v[234:235], v[86:87]    // 0000000059A0: D3B04056 1D5BD5E6
	v_mfma_i32_16x16x32_i8 v[228:231], a[112:113], v[208:209], 0// 0000000059A8: D3D700E4 0A03A170
	ds_read_b64 v[176:177], v12 offset:6144                    // 0000000059B0: D8EC1800 B000000C
	ds_read_b64 v[178:179], v12 offset:6272                    // 0000000059B8: D8EC1880 B200000C
	v_mfma_i32_16x16x32_i8 v[228:231], a[114:115], v[210:211], v[228:231]// 0000000059C0: D3D700E4 0F93A572
	buffer_load_dwordx4 a[56:59], v37, s[24:27], 0 offen offset:2048// 0000000059C8: E05C1800 80863825
	v_mfma_i32_16x16x32_i8 v[228:231], a[116:117], v[212:213], v[228:231]// 0000000059D0: D3D700E4 0F93A974
	ds_read_b64 v[180:181], v12 offset:7168                    // 0000000059D8: D8EC1C00 B400000C
	ds_read_b64 v[182:183], v12 offset:7296                    // 0000000059E0: D8EC1C80 B600000C
	v_mfma_i32_16x16x32_i8 v[228:231], a[118:119], v[214:215], v[228:231]// 0000000059E8: D3D700E4 0F93AD76
	v_mfma_i32_16x16x32_i8 v[228:231], a[120:121], v[216:217], v[228:231]// 0000000059F0: D3D700E4 0F93B178
	ds_read_b64 v[184:185], v12 offset:8192                    // 0000000059F8: D8EC2000 B800000C
	ds_read_b64 v[186:187], v12 offset:8320                    // 000000005A00: D8EC2080 BA00000C
	v_mfma_i32_16x16x32_i8 v[228:231], a[122:123], v[218:219], v[228:231]// 000000005A08: D3D700E4 0F93B57A
	buffer_load_dwordx4 a[60:63], v37, s[24:27], 0 offen offset:3072// 000000005A10: E05C1C00 80863C25
	v_mfma_i32_16x16x32_i8 v[228:231], a[124:125], v[220:221], v[228:231]// 000000005A18: D3D700E4 0F93B97C
	ds_read_b64 v[188:189], v12 offset:9216                    // 000000005A20: D8EC2400 BC00000C
	ds_read_b64 v[190:191], v12 offset:9344                    // 000000005A28: D8EC2480 BE00000C
	v_mfma_i32_16x16x32_i8 v[228:231], a[126:127], v[222:223], v[228:231]// 000000005A30: D3D700E4 0F93BD7E
	v_cvt_f32_i32_e32 v224, v224                               // 000000005A38: 7FC00BE0
	v_cvt_f32_i32_e32 v225, v225                               // 000000005A3C: 7FC20BE1
	v_cvt_f32_i32_e32 v226, v226                               // 000000005A40: 7FC40BE2
	v_cvt_f32_i32_e32 v227, v227                               // 000000005A44: 7FC60BE3
	v_pk_fma_f32 v[88:89], v[224:225], v[232:233], v[88:89]    // 000000005A48: D3B04058 1D63D1E0
	v_pk_fma_f32 v[90:91], v[226:227], v[232:233], v[90:91]    // 000000005A50: D3B0405A 1D6BD1E2
	v_cvt_f32_i32_e32 v228, v228                               // 000000005A58: 7FC80BE4
	v_cvt_f32_i32_e32 v229, v229                               // 000000005A5C: 7FCA0BE5
	v_cvt_f32_i32_e32 v230, v230                               // 000000005A60: 7FCC0BE6
	v_cvt_f32_i32_e32 v231, v231                               // 000000005A64: 7FCE0BE7
	v_pk_fma_f32 v[92:93], v[228:229], v[234:235], v[92:93]    // 000000005A68: D3B0405C 1D73D5E4
	v_pk_fma_f32 v[94:95], v[230:231], v[234:235], v[94:95]    // 000000005A70: D3B0405E 1D7BD5E6
	s_add_u32 s60, 0x200, s80                                  // 000000005A78: 803C50FF 00000200
	s_cmp_lt_u32 s60, s81                                      // 000000005A80: BF0A513C
	s_cselect_b32 s57, s57, 0                                  // 000000005A84: 85398039
	s_cselect_b32 s91, s91, 0                                  // 000000005A88: 855B805B
	s_add_u32 s60, 0x200, s80                                  // 000000005A8C: 803C50FF 00000200
	s_cmp_lt_u32 s60, s81                                      // 000000005A94: BF0A513C
	s_cselect_b32 s58, s58, 0                                  // 000000005A98: 853A803A
	s_add_u32 s20, s57, s20                                    // 000000005A9C: 80141439
	s_addc_u32 s21, 0, s21                                     // 000000005AA0: 82151580
	s_add_u32 s28, s91, s28                                    // 000000005AA4: 801C1C5B
	s_addc_u32 s29, 0, s29                                     // 000000005AA8: 821D1D80
	s_add_u32 s24, s58, s24                                    // 000000005AAC: 8018183A
	s_addc_u32 s25, 0, s25                                     // 000000005AB0: 82191980
	s_add_u32 s92, s90, s92                                    // 000000005AB4: 805C5C5A
	s_addc_u32 s93, 0, s93                                     // 000000005AB8: 825D5D80
	s_addk_i32 s80, 0x100                                      // 000000005ABC: B7500100
	s_cmp_lt_i32 s80, s81                                      // 000000005AC0: BF045150
	s_cbranch_scc0 label_0B33                                  // 000000005AC4: BF840001
	s_branch label_03D2                                        // 000000005AC8: BF82F89F

0000000000005acc <label_0B33>:
	s_mov_b32 s20, 0                                           // 000000005ACC: BE940080
	s_cmp_lt_u32 s89, s66                                      // 000000005AD0: BF0A4259
	s_cselect_b32 s60, 0, 1                                    // 000000005AD4: 853C8180
	s_lshl1_add_u32 s20, s20, s60                              // 000000005AD8: 97143C14
	s_cmp_lt_u32 s88, s66                                      // 000000005ADC: BF0A4258
	s_cselect_b32 s60, 0, 1                                    // 000000005AE0: 853C8180
	s_lshl1_add_u32 s20, s20, s60                              // 000000005AE4: 97143C14
	s_cmp_lt_u32 s87, s66                                      // 000000005AE8: BF0A4257
	s_cselect_b32 s60, 0, 1                                    // 000000005AEC: 853C8180
	s_lshl1_add_u32 s20, s20, s60                              // 000000005AF0: 97143C14
	s_cmp_lt_u32 s86, s66                                      // 000000005AF4: BF0A4256
	s_cselect_b32 s60, 0, 1                                    // 000000005AF8: 853C8180
	s_lshl1_add_u32 s20, s20, s60                              // 000000005AFC: 97143C14
	s_cmp_lt_u32 s85, s66                                      // 000000005B00: BF0A4255
	s_cselect_b32 s60, 0, 1                                    // 000000005B04: 853C8180
	s_lshl1_add_u32 s20, s20, s60                              // 000000005B08: 97143C14
	s_cmp_lt_u32 s84, s66                                      // 000000005B0C: BF0A4254
	s_cselect_b32 s60, 0, 1                                    // 000000005B10: 853C8180
	s_lshl1_add_u32 s20, s20, s60                              // 000000005B14: 97143C14
	s_cmp_lt_u32 s83, s66                                      // 000000005B18: BF0A4253
	s_cselect_b32 s60, 0, 1                                    // 000000005B1C: 853C8180
	s_lshl1_add_u32 s20, s20, s60                              // 000000005B20: 97143C14
	s_cmp_lt_u32 s82, s66                                      // 000000005B24: BF0A4252
	s_cselect_b32 s60, 0, 1                                    // 000000005B28: 853C8180
	s_lshl1_add_u32 s20, s20, s60                              // 000000005B2C: 97143C14
	v_mov_b32_e32 v50, 0xbfcc4231                              // 000000005B30: 7E6402FF BFCC4231
	v_mov_b32_e32 v51, 0xbfcc4231                              // 000000005B38: 7E6602FF BFCC4231
	v_mov_b32_e32 v47, 0xffff0000                              // 000000005B40: 7E5E02FF FFFF0000
	v_mov_b32_e32 v48, 0x7fff0000                              // 000000005B48: 7E6002FF 7FFF0000
	v_mov_b32_e32 v49, 0x7fff                                  // 000000005B50: 7E6202FF 00007FFF
	s_mul_i32 s60, s5, 16                                      // 000000005B58: 923C9005
	s_mul_i32 s60, s60, s70                                    // 000000005B5C: 923C463C
	v_lshlrev_b32_e32 v42, 4, v0                               // 000000005B60: 24540084
	v_add_u32_e32 v42, s60, v42                                // 000000005B64: 6854543C
	s_mul_i32 s60, 64, s70                                     // 000000005B68: 923C46C0
	v_add_u32_e32 v43, s60, v42                                // 000000005B6C: 6856543C
	v_add_u32_e32 v44, s60, v43                                // 000000005B70: 6858563C
	v_add_u32_e32 v45, s60, v44                                // 000000005B74: 685A583C
	v_lshrrev_b32_e32 v38, 4, v0                               // 000000005B78: 204C0084
	v_mul_i32_i24_e32 v3, 34, v38                              // 000000005B7C: 0C064CA2
	v_and_b32_e32 v38, 15, v0                                  // 000000005B80: 264C008F
	v_mul_i32_i24_e32 v39, 2, v38                              // 000000005B84: 0C4E4C82
	v_add_u32_e32 v3, v39, v3                                  // 000000005B88: 68060727
	s_mul_i32 s60, s5, 0x88                                    // 000000005B8C: 923CFF05 00000088
	v_add_u32_e32 v3, s60, v3                                  // 000000005B94: 6806063C
	v_lshlrev_b32_e32 v3, 2, v3                                // 000000005B98: 24060682
	v_lshrrev_b32_e32 v38, 1, v0                               // 000000005B9C: 204C0081
	v_mul_i32_i24_e32 v4, 34, v38                              // 000000005BA0: 0C084CA2
	v_and_b32_e32 v39, 1, v0                                   // 000000005BA4: 264E0081
	v_add_u32_e32 v4, v39, v4                                  // 000000005BA8: 68080927
	s_mul_i32 s60, s5, 2                                       // 000000005BAC: 923C8205
	v_add_u32_e32 v4, s60, v4                                  // 000000005BB0: 6808083C
	v_lshlrev_b32_e32 v4, 2, v4                                // 000000005BB4: 24080882
	v_mul_f32_dpp v128, v15, v128 row_newbcast:0 row_mask:0xf bank_mask:0xf// 000000005BB8: 0B0100FA FF01500F
	v_mul_f32_dpp v129, v15, v129 row_newbcast:1 row_mask:0xf bank_mask:0xf// 000000005BC0: 0B0302FA FF01510F
	v_mul_f32_dpp v130, v15, v130 row_newbcast:2 row_mask:0xf bank_mask:0xf// 000000005BC8: 0B0504FA FF01520F
	v_mul_f32_dpp v131, v15, v131 row_newbcast:3 row_mask:0xf bank_mask:0xf// 000000005BD0: 0B0706FA FF01530F
	v_mul_f32_dpp v132, v15, v132 row_newbcast:0 row_mask:0xf bank_mask:0xf// 000000005BD8: 0B0908FA FF01500F
	v_mul_f32_dpp v133, v15, v133 row_newbcast:1 row_mask:0xf bank_mask:0xf// 000000005BE0: 0B0B0AFA FF01510F
	v_mul_f32_dpp v134, v15, v134 row_newbcast:2 row_mask:0xf bank_mask:0xf// 000000005BE8: 0B0D0CFA FF01520F
	v_mul_f32_dpp v135, v15, v135 row_newbcast:3 row_mask:0xf bank_mask:0xf// 000000005BF0: 0B0F0EFA FF01530F
	v_mul_f32_dpp v136, v15, v136 row_newbcast:4 row_mask:0xf bank_mask:0xf// 000000005BF8: 0B1110FA FF01540F
	v_mul_f32_dpp v137, v15, v137 row_newbcast:5 row_mask:0xf bank_mask:0xf// 000000005C00: 0B1312FA FF01550F
	v_mul_f32_dpp v138, v15, v138 row_newbcast:6 row_mask:0xf bank_mask:0xf// 000000005C08: 0B1514FA FF01560F
	v_mul_f32_dpp v139, v15, v139 row_newbcast:7 row_mask:0xf bank_mask:0xf// 000000005C10: 0B1716FA FF01570F
	v_mul_f32_dpp v140, v15, v140 row_newbcast:4 row_mask:0xf bank_mask:0xf// 000000005C18: 0B1918FA FF01540F
	v_mul_f32_dpp v141, v15, v141 row_newbcast:5 row_mask:0xf bank_mask:0xf// 000000005C20: 0B1B1AFA FF01550F
	v_mul_f32_dpp v142, v15, v142 row_newbcast:6 row_mask:0xf bank_mask:0xf// 000000005C28: 0B1D1CFA FF01560F
	v_mul_f32_dpp v143, v15, v143 row_newbcast:7 row_mask:0xf bank_mask:0xf// 000000005C30: 0B1F1EFA FF01570F
	v_mul_f32_dpp v144, v15, v144 row_newbcast:8 row_mask:0xf bank_mask:0xf// 000000005C38: 0B2120FA FF01580F
	v_mul_f32_dpp v145, v15, v145 row_newbcast:9 row_mask:0xf bank_mask:0xf// 000000005C40: 0B2322FA FF01590F
	v_mul_f32_dpp v146, v15, v146 row_newbcast:10 row_mask:0xf bank_mask:0xf// 000000005C48: 0B2524FA FF015A0F
	v_mul_f32_dpp v147, v15, v147 row_newbcast:11 row_mask:0xf bank_mask:0xf// 000000005C50: 0B2726FA FF015B0F
	v_mul_f32_dpp v148, v15, v148 row_newbcast:8 row_mask:0xf bank_mask:0xf// 000000005C58: 0B2928FA FF01580F
	v_mul_f32_dpp v149, v15, v149 row_newbcast:9 row_mask:0xf bank_mask:0xf// 000000005C60: 0B2B2AFA FF01590F
	v_mul_f32_dpp v150, v15, v150 row_newbcast:10 row_mask:0xf bank_mask:0xf// 000000005C68: 0B2D2CFA FF015A0F
	v_mul_f32_dpp v151, v15, v151 row_newbcast:11 row_mask:0xf bank_mask:0xf// 000000005C70: 0B2F2EFA FF015B0F
	v_mul_f32_dpp v152, v15, v152 row_newbcast:12 row_mask:0xf bank_mask:0xf// 000000005C78: 0B3130FA FF015C0F
	v_mul_f32_dpp v153, v15, v153 row_newbcast:13 row_mask:0xf bank_mask:0xf// 000000005C80: 0B3332FA FF015D0F
	v_mul_f32_dpp v154, v15, v154 row_newbcast:14 row_mask:0xf bank_mask:0xf// 000000005C88: 0B3534FA FF015E0F
	v_mul_f32_dpp v155, v15, v155 row_newbcast:15 row_mask:0xf bank_mask:0xf// 000000005C90: 0B3736FA FF015F0F
	v_mul_f32_dpp v156, v15, v156 row_newbcast:12 row_mask:0xf bank_mask:0xf// 000000005C98: 0B3938FA FF015C0F
	v_mul_f32_dpp v157, v15, v157 row_newbcast:13 row_mask:0xf bank_mask:0xf// 000000005CA0: 0B3B3AFA FF015D0F
	v_mul_f32_dpp v158, v15, v158 row_newbcast:14 row_mask:0xf bank_mask:0xf// 000000005CA8: 0B3D3CFA FF015E0F
	v_mul_f32_dpp v159, v15, v159 row_newbcast:15 row_mask:0xf bank_mask:0xf// 000000005CB0: 0B3F3EFA FF015F0F
	v_mul_f32_dpp v64, v8, v64 row_newbcast:0 row_mask:0xf bank_mask:0xf// 000000005CB8: 0A8080FA FF015008
	v_mul_f32_dpp v65, v8, v65 row_newbcast:1 row_mask:0xf bank_mask:0xf// 000000005CC0: 0A8282FA FF015108
	v_mul_f32_dpp v66, v8, v66 row_newbcast:2 row_mask:0xf bank_mask:0xf// 000000005CC8: 0A8484FA FF015208
	v_mul_f32_dpp v67, v8, v67 row_newbcast:3 row_mask:0xf bank_mask:0xf// 000000005CD0: 0A8686FA FF015308
	v_mul_f32_dpp v68, v8, v68 row_newbcast:0 row_mask:0xf bank_mask:0xf// 000000005CD8: 0A8888FA FF015008
	v_mul_f32_dpp v69, v8, v69 row_newbcast:1 row_mask:0xf bank_mask:0xf// 000000005CE0: 0A8A8AFA FF015108
	v_mul_f32_dpp v70, v8, v70 row_newbcast:2 row_mask:0xf bank_mask:0xf// 000000005CE8: 0A8C8CFA FF015208
	v_mul_f32_dpp v71, v8, v71 row_newbcast:3 row_mask:0xf bank_mask:0xf// 000000005CF0: 0A8E8EFA FF015308
	v_mul_f32_dpp v72, v8, v72 row_newbcast:4 row_mask:0xf bank_mask:0xf// 000000005CF8: 0A9090FA FF015408
	v_mul_f32_dpp v73, v8, v73 row_newbcast:5 row_mask:0xf bank_mask:0xf// 000000005D00: 0A9292FA FF015508
	v_mul_f32_dpp v74, v8, v74 row_newbcast:6 row_mask:0xf bank_mask:0xf// 000000005D08: 0A9494FA FF015608
	v_mul_f32_dpp v75, v8, v75 row_newbcast:7 row_mask:0xf bank_mask:0xf// 000000005D10: 0A9696FA FF015708
	v_mul_f32_dpp v76, v8, v76 row_newbcast:4 row_mask:0xf bank_mask:0xf// 000000005D18: 0A9898FA FF015408
	v_mul_f32_dpp v77, v8, v77 row_newbcast:5 row_mask:0xf bank_mask:0xf// 000000005D20: 0A9A9AFA FF015508
	v_mul_f32_dpp v78, v8, v78 row_newbcast:6 row_mask:0xf bank_mask:0xf// 000000005D28: 0A9C9CFA FF015608
	v_mul_f32_dpp v79, v8, v79 row_newbcast:7 row_mask:0xf bank_mask:0xf// 000000005D30: 0A9E9EFA FF015708
	v_mul_f32_dpp v80, v8, v80 row_newbcast:8 row_mask:0xf bank_mask:0xf// 000000005D38: 0AA0A0FA FF015808
	v_mul_f32_dpp v81, v8, v81 row_newbcast:9 row_mask:0xf bank_mask:0xf// 000000005D40: 0AA2A2FA FF015908
	v_mul_f32_dpp v82, v8, v82 row_newbcast:10 row_mask:0xf bank_mask:0xf// 000000005D48: 0AA4A4FA FF015A08
	v_mul_f32_dpp v83, v8, v83 row_newbcast:11 row_mask:0xf bank_mask:0xf// 000000005D50: 0AA6A6FA FF015B08
	v_mul_f32_dpp v84, v8, v84 row_newbcast:8 row_mask:0xf bank_mask:0xf// 000000005D58: 0AA8A8FA FF015808
	v_mul_f32_dpp v85, v8, v85 row_newbcast:9 row_mask:0xf bank_mask:0xf// 000000005D60: 0AAAAAFA FF015908
	v_mul_f32_dpp v86, v8, v86 row_newbcast:10 row_mask:0xf bank_mask:0xf// 000000005D68: 0AACACFA FF015A08
	v_mul_f32_dpp v87, v8, v87 row_newbcast:11 row_mask:0xf bank_mask:0xf// 000000005D70: 0AAEAEFA FF015B08
	v_mul_f32_dpp v88, v8, v88 row_newbcast:12 row_mask:0xf bank_mask:0xf// 000000005D78: 0AB0B0FA FF015C08
	v_mul_f32_dpp v89, v8, v89 row_newbcast:13 row_mask:0xf bank_mask:0xf// 000000005D80: 0AB2B2FA FF015D08
	v_mul_f32_dpp v90, v8, v90 row_newbcast:14 row_mask:0xf bank_mask:0xf// 000000005D88: 0AB4B4FA FF015E08
	v_mul_f32_dpp v91, v8, v91 row_newbcast:15 row_mask:0xf bank_mask:0xf// 000000005D90: 0AB6B6FA FF015F08
	v_mul_f32_dpp v92, v8, v92 row_newbcast:12 row_mask:0xf bank_mask:0xf// 000000005D98: 0AB8B8FA FF015C08
	v_mul_f32_dpp v93, v8, v93 row_newbcast:13 row_mask:0xf bank_mask:0xf// 000000005DA0: 0ABABAFA FF015D08
	v_mul_f32_dpp v94, v8, v94 row_newbcast:14 row_mask:0xf bank_mask:0xf// 000000005DA8: 0ABCBCFA FF015E08
	v_mul_f32_dpp v95, v8, v95 row_newbcast:15 row_mask:0xf bank_mask:0xf// 000000005DB0: 0ABEBEFA FF015F08
	s_waitcnt vmcnt(12)                                        // 000000005DB8: BF8C0F7C
	buffer_load_dwordx4 a[0:3], v42, s[12:15], 0 offen         // 000000005DBC: E05C1000 8083002A
	v_mul_f32_e64 v38, -v128, s6                               // 000000005DC4: D1050026 20000D80
	v_mul_f32_e64 v39, -v129, s6                               // 000000005DCC: D1050027 20000D81
	v_mul_f32_e64 v40, -v130, s6                               // 000000005DD4: D1050028 20000D82
	v_mul_f32_e64 v41, -v131, s6                               // 000000005DDC: D1050029 20000D83
	v_exp_f32_e32 v38, v38                                     // 000000005DE4: 7E4C4126
	v_exp_f32_e32 v39, v39                                     // 000000005DE8: 7E4E4127
	v_exp_f32_e32 v40, v40                                     // 000000005DEC: 7E504128
	v_exp_f32_e32 v41, v41                                     // 000000005DF0: 7E524129
	buffer_load_dwordx4 a[4:7], v43, s[12:15], 0 offen         // 000000005DF4: E05C1000 8083042B
	v_add_f32_e64 v38, v38, 1.0                                // 000000005DFC: D1010026 0001E526
	v_add_f32_e64 v39, v39, 1.0                                // 000000005E04: D1010027 0001E527
	v_add_f32_e64 v40, v40, 1.0                                // 000000005E0C: D1010028 0001E528
	v_add_f32_e64 v41, v41, 1.0                                // 000000005E14: D1010029 0001E529
	v_rcp_f32_e32 v38, v38                                     // 000000005E1C: 7E4C4526
	v_rcp_f32_e32 v39, v39                                     // 000000005E20: 7E4E4527
	v_rcp_f32_e32 v40, v40                                     // 000000005E24: 7E504528
	v_rcp_f32_e32 v41, v41                                     // 000000005E28: 7E524529
	v_pk_mul_f32 v[128:129], v[128:129], v[38:39]              // 000000005E2C: D3B14080 18024D80
	v_pk_mul_f32 v[130:131], v[130:131], v[40:41]              // 000000005E34: D3B14082 18025182
	v_pk_mul_f32 v[128:129], v[128:129], v[64:65]              // 000000005E3C: D3B14080 18028180
	v_pk_mul_f32 v[130:131], v[130:131], v[66:67]              // 000000005E44: D3B14082 18028582
	buffer_load_dwordx4 a[8:11], v44, s[12:15], 0 offen        // 000000005E4C: E05C1000 8083082C
	v_mul_f32_e64 v38, -v132, s6                               // 000000005E54: D1050026 20000D84
	v_mul_f32_e64 v39, -v133, s6                               // 000000005E5C: D1050027 20000D85
	v_mul_f32_e64 v40, -v134, s6                               // 000000005E64: D1050028 20000D86
	v_mul_f32_e64 v41, -v135, s6                               // 000000005E6C: D1050029 20000D87
	v_exp_f32_e32 v38, v38                                     // 000000005E74: 7E4C4126
	v_exp_f32_e32 v39, v39                                     // 000000005E78: 7E4E4127
	v_exp_f32_e32 v40, v40                                     // 000000005E7C: 7E504128
	v_exp_f32_e32 v41, v41                                     // 000000005E80: 7E524129
	buffer_load_dwordx4 a[12:15], v45, s[12:15], 0 offen       // 000000005E84: E05C1000 80830C2D
	s_add_u32 s12, s78, s12                                    // 000000005E8C: 800C0C4E
	s_addc_u32 s13, 0, s13                                     // 000000005E90: 820D0D80
	v_add_f32_e64 v38, v38, 1.0                                // 000000005E94: D1010026 0001E526
	v_add_f32_e64 v39, v39, 1.0                                // 000000005E9C: D1010027 0001E527
	v_add_f32_e64 v40, v40, 1.0                                // 000000005EA4: D1010028 0001E528
	v_add_f32_e64 v41, v41, 1.0                                // 000000005EAC: D1010029 0001E529
	v_rcp_f32_e32 v38, v38                                     // 000000005EB4: 7E4C4526
	v_rcp_f32_e32 v39, v39                                     // 000000005EB8: 7E4E4527
	v_rcp_f32_e32 v40, v40                                     // 000000005EBC: 7E504528
	v_rcp_f32_e32 v41, v41                                     // 000000005EC0: 7E524529
	v_pk_mul_f32 v[132:133], v[132:133], v[38:39]              // 000000005EC4: D3B14084 18024D84
	v_pk_mul_f32 v[134:135], v[134:135], v[40:41]              // 000000005ECC: D3B14086 18025186
	v_pk_mul_f32 v[132:133], v[132:133], v[68:69]              // 000000005ED4: D3B14084 18028984
	v_pk_mul_f32 v[134:135], v[134:135], v[70:71]              // 000000005EDC: D3B14086 18028D86
	s_waitcnt vmcnt(12)                                        // 000000005EE4: BF8C0F7C
	buffer_load_dwordx4 a[16:19], v42, s[12:15], 0 offen       // 000000005EE8: E05C1000 8083102A
	v_mul_f32_e64 v38, -v136, s6                               // 000000005EF0: D1050026 20000D88
	v_mul_f32_e64 v39, -v137, s6                               // 000000005EF8: D1050027 20000D89
	v_mul_f32_e64 v40, -v138, s6                               // 000000005F00: D1050028 20000D8A
	v_mul_f32_e64 v41, -v139, s6                               // 000000005F08: D1050029 20000D8B
	v_exp_f32_e32 v38, v38                                     // 000000005F10: 7E4C4126
	v_exp_f32_e32 v39, v39                                     // 000000005F14: 7E4E4127
	v_exp_f32_e32 v40, v40                                     // 000000005F18: 7E504128
	v_exp_f32_e32 v41, v41                                     // 000000005F1C: 7E524129
	buffer_load_dwordx4 a[20:23], v43, s[12:15], 0 offen       // 000000005F20: E05C1000 8083142B
	v_add_f32_e64 v38, v38, 1.0                                // 000000005F28: D1010026 0001E526
	v_add_f32_e64 v39, v39, 1.0                                // 000000005F30: D1010027 0001E527
	v_add_f32_e64 v40, v40, 1.0                                // 000000005F38: D1010028 0001E528
	v_add_f32_e64 v41, v41, 1.0                                // 000000005F40: D1010029 0001E529
	v_rcp_f32_e32 v38, v38                                     // 000000005F48: 7E4C4526
	v_rcp_f32_e32 v39, v39                                     // 000000005F4C: 7E4E4527
	v_rcp_f32_e32 v40, v40                                     // 000000005F50: 7E504528
	v_rcp_f32_e32 v41, v41                                     // 000000005F54: 7E524529
	v_pk_mul_f32 v[136:137], v[136:137], v[38:39]              // 000000005F58: D3B14088 18024D88
	v_pk_mul_f32 v[138:139], v[138:139], v[40:41]              // 000000005F60: D3B1408A 1802518A
	v_pk_mul_f32 v[136:137], v[136:137], v[72:73]              // 000000005F68: D3B14088 18029188
	v_pk_mul_f32 v[138:139], v[138:139], v[74:75]              // 000000005F70: D3B1408A 1802958A
	buffer_load_dwordx4 a[24:27], v44, s[12:15], 0 offen       // 000000005F78: E05C1000 8083182C
	v_mul_f32_e64 v38, -v140, s6                               // 000000005F80: D1050026 20000D8C
	v_mul_f32_e64 v39, -v141, s6                               // 000000005F88: D1050027 20000D8D
	v_mul_f32_e64 v40, -v142, s6                               // 000000005F90: D1050028 20000D8E
	v_mul_f32_e64 v41, -v143, s6                               // 000000005F98: D1050029 20000D8F
	v_exp_f32_e32 v38, v38                                     // 000000005FA0: 7E4C4126
	v_exp_f32_e32 v39, v39                                     // 000000005FA4: 7E4E4127
	v_exp_f32_e32 v40, v40                                     // 000000005FA8: 7E504128
	v_exp_f32_e32 v41, v41                                     // 000000005FAC: 7E524129
	buffer_load_dwordx4 a[28:31], v45, s[12:15], 0 offen       // 000000005FB0: E05C1000 80831C2D
	s_add_u32 s12, s78, s12                                    // 000000005FB8: 800C0C4E
	s_addc_u32 s13, 0, s13                                     // 000000005FBC: 820D0D80
	v_add_f32_e64 v38, v38, 1.0                                // 000000005FC0: D1010026 0001E526
	v_add_f32_e64 v39, v39, 1.0                                // 000000005FC8: D1010027 0001E527
	v_add_f32_e64 v40, v40, 1.0                                // 000000005FD0: D1010028 0001E528
	v_add_f32_e64 v41, v41, 1.0                                // 000000005FD8: D1010029 0001E529
	v_rcp_f32_e32 v38, v38                                     // 000000005FE0: 7E4C4526
	v_rcp_f32_e32 v39, v39                                     // 000000005FE4: 7E4E4527
	v_rcp_f32_e32 v40, v40                                     // 000000005FE8: 7E504528
	v_rcp_f32_e32 v41, v41                                     // 000000005FEC: 7E524529
	v_pk_mul_f32 v[140:141], v[140:141], v[38:39]              // 000000005FF0: D3B1408C 18024D8C
	v_pk_mul_f32 v[142:143], v[142:143], v[40:41]              // 000000005FF8: D3B1408E 1802518E
	v_pk_mul_f32 v[140:141], v[140:141], v[76:77]              // 000000006000: D3B1408C 1802998C
	v_pk_mul_f32 v[142:143], v[142:143], v[78:79]              // 000000006008: D3B1408E 18029D8E
	s_waitcnt vmcnt(12)                                        // 000000006010: BF8C0F7C
	buffer_load_dwordx4 a[32:35], v42, s[12:15], 0 offen       // 000000006014: E05C1000 8083202A
	v_mul_f32_e64 v38, -v144, s6                               // 00000000601C: D1050026 20000D90
	v_mul_f32_e64 v39, -v145, s6                               // 000000006024: D1050027 20000D91
	v_mul_f32_e64 v40, -v146, s6                               // 00000000602C: D1050028 20000D92
	v_mul_f32_e64 v41, -v147, s6                               // 000000006034: D1050029 20000D93
	v_exp_f32_e32 v38, v38                                     // 00000000603C: 7E4C4126
	v_exp_f32_e32 v39, v39                                     // 000000006040: 7E4E4127
	v_exp_f32_e32 v40, v40                                     // 000000006044: 7E504128
	v_exp_f32_e32 v41, v41                                     // 000000006048: 7E524129
	buffer_load_dwordx4 a[36:39], v43, s[12:15], 0 offen       // 00000000604C: E05C1000 8083242B
	v_add_f32_e64 v38, v38, 1.0                                // 000000006054: D1010026 0001E526
	v_add_f32_e64 v39, v39, 1.0                                // 00000000605C: D1010027 0001E527
	v_add_f32_e64 v40, v40, 1.0                                // 000000006064: D1010028 0001E528
	v_add_f32_e64 v41, v41, 1.0                                // 00000000606C: D1010029 0001E529
	v_rcp_f32_e32 v38, v38                                     // 000000006074: 7E4C4526
	v_rcp_f32_e32 v39, v39                                     // 000000006078: 7E4E4527
	v_rcp_f32_e32 v40, v40                                     // 00000000607C: 7E504528
	v_rcp_f32_e32 v41, v41                                     // 000000006080: 7E524529
	v_pk_mul_f32 v[144:145], v[144:145], v[38:39]              // 000000006084: D3B14090 18024D90
	v_pk_mul_f32 v[146:147], v[146:147], v[40:41]              // 00000000608C: D3B14092 18025192
	v_pk_mul_f32 v[144:145], v[144:145], v[80:81]              // 000000006094: D3B14090 1802A190
	v_pk_mul_f32 v[146:147], v[146:147], v[82:83]              // 00000000609C: D3B14092 1802A592
	buffer_load_dwordx4 a[40:43], v44, s[12:15], 0 offen       // 0000000060A4: E05C1000 8083282C
	v_mul_f32_e64 v38, -v148, s6                               // 0000000060AC: D1050026 20000D94
	v_mul_f32_e64 v39, -v149, s6                               // 0000000060B4: D1050027 20000D95
	v_mul_f32_e64 v40, -v150, s6                               // 0000000060BC: D1050028 20000D96
	v_mul_f32_e64 v41, -v151, s6                               // 0000000060C4: D1050029 20000D97
	v_exp_f32_e32 v38, v38                                     // 0000000060CC: 7E4C4126
	v_exp_f32_e32 v39, v39                                     // 0000000060D0: 7E4E4127
	v_exp_f32_e32 v40, v40                                     // 0000000060D4: 7E504128
	v_exp_f32_e32 v41, v41                                     // 0000000060D8: 7E524129
	buffer_load_dwordx4 a[44:47], v45, s[12:15], 0 offen       // 0000000060DC: E05C1000 80832C2D
	s_add_u32 s12, s78, s12                                    // 0000000060E4: 800C0C4E
	s_addc_u32 s13, 0, s13                                     // 0000000060E8: 820D0D80
	v_add_f32_e64 v38, v38, 1.0                                // 0000000060EC: D1010026 0001E526
	v_add_f32_e64 v39, v39, 1.0                                // 0000000060F4: D1010027 0001E527
	v_add_f32_e64 v40, v40, 1.0                                // 0000000060FC: D1010028 0001E528
	v_add_f32_e64 v41, v41, 1.0                                // 000000006104: D1010029 0001E529
	v_rcp_f32_e32 v38, v38                                     // 00000000610C: 7E4C4526
	v_rcp_f32_e32 v39, v39                                     // 000000006110: 7E4E4527
	v_rcp_f32_e32 v40, v40                                     // 000000006114: 7E504528
	v_rcp_f32_e32 v41, v41                                     // 000000006118: 7E524529
	v_pk_mul_f32 v[148:149], v[148:149], v[38:39]              // 00000000611C: D3B14094 18024D94
	v_pk_mul_f32 v[150:151], v[150:151], v[40:41]              // 000000006124: D3B14096 18025196
	v_pk_mul_f32 v[148:149], v[148:149], v[84:85]              // 00000000612C: D3B14094 1802A994
	v_pk_mul_f32 v[150:151], v[150:151], v[86:87]              // 000000006134: D3B14096 1802AD96
	s_waitcnt vmcnt(12)                                        // 00000000613C: BF8C0F7C
	buffer_load_dwordx4 a[48:51], v42, s[12:15], 0 offen       // 000000006140: E05C1000 8083302A
	v_mul_f32_e64 v38, -v152, s6                               // 000000006148: D1050026 20000D98
	v_mul_f32_e64 v39, -v153, s6                               // 000000006150: D1050027 20000D99
	v_mul_f32_e64 v40, -v154, s6                               // 000000006158: D1050028 20000D9A
	v_mul_f32_e64 v41, -v155, s6                               // 000000006160: D1050029 20000D9B
	v_exp_f32_e32 v38, v38                                     // 000000006168: 7E4C4126
	v_exp_f32_e32 v39, v39                                     // 00000000616C: 7E4E4127
	v_exp_f32_e32 v40, v40                                     // 000000006170: 7E504128
	v_exp_f32_e32 v41, v41                                     // 000000006174: 7E524129
	buffer_load_dwordx4 a[52:55], v43, s[12:15], 0 offen       // 000000006178: E05C1000 8083342B
	v_add_f32_e64 v38, v38, 1.0                                // 000000006180: D1010026 0001E526
	v_add_f32_e64 v39, v39, 1.0                                // 000000006188: D1010027 0001E527
	v_add_f32_e64 v40, v40, 1.0                                // 000000006190: D1010028 0001E528
	v_add_f32_e64 v41, v41, 1.0                                // 000000006198: D1010029 0001E529
	v_rcp_f32_e32 v38, v38                                     // 0000000061A0: 7E4C4526
	v_rcp_f32_e32 v39, v39                                     // 0000000061A4: 7E4E4527
	v_rcp_f32_e32 v40, v40                                     // 0000000061A8: 7E504528
	v_rcp_f32_e32 v41, v41                                     // 0000000061AC: 7E524529
	v_pk_mul_f32 v[152:153], v[152:153], v[38:39]              // 0000000061B0: D3B14098 18024D98
	v_pk_mul_f32 v[154:155], v[154:155], v[40:41]              // 0000000061B8: D3B1409A 1802519A
	v_pk_mul_f32 v[152:153], v[152:153], v[88:89]              // 0000000061C0: D3B14098 1802B198
	v_pk_mul_f32 v[154:155], v[154:155], v[90:91]              // 0000000061C8: D3B1409A 1802B59A
	buffer_load_dwordx4 a[56:59], v44, s[12:15], 0 offen       // 0000000061D0: E05C1000 8083382C
	v_mul_f32_e64 v38, -v156, s6                               // 0000000061D8: D1050026 20000D9C
	v_mul_f32_e64 v39, -v157, s6                               // 0000000061E0: D1050027 20000D9D
	v_mul_f32_e64 v40, -v158, s6                               // 0000000061E8: D1050028 20000D9E
	v_mul_f32_e64 v41, -v159, s6                               // 0000000061F0: D1050029 20000D9F
	v_exp_f32_e32 v38, v38                                     // 0000000061F8: 7E4C4126
	v_exp_f32_e32 v39, v39                                     // 0000000061FC: 7E4E4127
	v_exp_f32_e32 v40, v40                                     // 000000006200: 7E504128
	v_exp_f32_e32 v41, v41                                     // 000000006204: 7E524129
	buffer_load_dwordx4 a[60:63], v45, s[12:15], 0 offen       // 000000006208: E05C1000 80833C2D
	v_add_f32_e64 v38, v38, 1.0                                // 000000006210: D1010026 0001E526
	v_add_f32_e64 v39, v39, 1.0                                // 000000006218: D1010027 0001E527
	v_add_f32_e64 v40, v40, 1.0                                // 000000006220: D1010028 0001E528
	v_add_f32_e64 v41, v41, 1.0                                // 000000006228: D1010029 0001E529
	v_rcp_f32_e32 v38, v38                                     // 000000006230: 7E4C4526
	v_rcp_f32_e32 v39, v39                                     // 000000006234: 7E4E4527
	v_rcp_f32_e32 v40, v40                                     // 000000006238: 7E504528
	v_rcp_f32_e32 v41, v41                                     // 00000000623C: 7E524529
	v_pk_mul_f32 v[156:157], v[156:157], v[38:39]              // 000000006240: D3B1409C 18024D9C
	v_pk_mul_f32 v[158:159], v[158:159], v[40:41]              // 000000006248: D3B1409E 1802519E
	v_pk_mul_f32 v[156:157], v[156:157], v[92:93]              // 000000006250: D3B1409C 1802B99C
	v_pk_mul_f32 v[158:159], v[158:159], v[94:95]              // 000000006258: D3B1409E 1802BD9E
	v_mul_f32_dpp v128, v16, v128 row_newbcast:0 row_mask:0xf bank_mask:0xf// 000000006260: 0B0100FA FF015010
	v_mul_f32_dpp v129, v16, v129 row_newbcast:1 row_mask:0xf bank_mask:0xf// 000000006268: 0B0302FA FF015110
	v_mul_f32_dpp v130, v16, v130 row_newbcast:2 row_mask:0xf bank_mask:0xf// 000000006270: 0B0504FA FF015210
	v_mul_f32_dpp v131, v16, v131 row_newbcast:3 row_mask:0xf bank_mask:0xf// 000000006278: 0B0706FA FF015310
	v_mul_f32_dpp v132, v16, v132 row_newbcast:0 row_mask:0xf bank_mask:0xf// 000000006280: 0B0908FA FF015010
	v_mul_f32_dpp v133, v16, v133 row_newbcast:1 row_mask:0xf bank_mask:0xf// 000000006288: 0B0B0AFA FF015110
	v_mul_f32_dpp v134, v16, v134 row_newbcast:2 row_mask:0xf bank_mask:0xf// 000000006290: 0B0D0CFA FF015210
	v_mul_f32_dpp v135, v16, v135 row_newbcast:3 row_mask:0xf bank_mask:0xf// 000000006298: 0B0F0EFA FF015310
	v_mul_f32_dpp v136, v16, v136 row_newbcast:4 row_mask:0xf bank_mask:0xf// 0000000062A0: 0B1110FA FF015410
	v_mul_f32_dpp v137, v16, v137 row_newbcast:5 row_mask:0xf bank_mask:0xf// 0000000062A8: 0B1312FA FF015510
	v_mul_f32_dpp v138, v16, v138 row_newbcast:6 row_mask:0xf bank_mask:0xf// 0000000062B0: 0B1514FA FF015610
	v_mul_f32_dpp v139, v16, v139 row_newbcast:7 row_mask:0xf bank_mask:0xf// 0000000062B8: 0B1716FA FF015710
	v_mul_f32_dpp v140, v16, v140 row_newbcast:4 row_mask:0xf bank_mask:0xf// 0000000062C0: 0B1918FA FF015410
	v_mul_f32_dpp v141, v16, v141 row_newbcast:5 row_mask:0xf bank_mask:0xf// 0000000062C8: 0B1B1AFA FF015510
	v_mul_f32_dpp v142, v16, v142 row_newbcast:6 row_mask:0xf bank_mask:0xf// 0000000062D0: 0B1D1CFA FF015610
	v_mul_f32_dpp v143, v16, v143 row_newbcast:7 row_mask:0xf bank_mask:0xf// 0000000062D8: 0B1F1EFA FF015710
	v_mul_f32_dpp v144, v16, v144 row_newbcast:8 row_mask:0xf bank_mask:0xf// 0000000062E0: 0B2120FA FF015810
	v_mul_f32_dpp v145, v16, v145 row_newbcast:9 row_mask:0xf bank_mask:0xf// 0000000062E8: 0B2322FA FF015910
	v_mul_f32_dpp v146, v16, v146 row_newbcast:10 row_mask:0xf bank_mask:0xf// 0000000062F0: 0B2524FA FF015A10
	v_mul_f32_dpp v147, v16, v147 row_newbcast:11 row_mask:0xf bank_mask:0xf// 0000000062F8: 0B2726FA FF015B10
	v_mul_f32_dpp v148, v16, v148 row_newbcast:8 row_mask:0xf bank_mask:0xf// 000000006300: 0B2928FA FF015810
	v_mul_f32_dpp v149, v16, v149 row_newbcast:9 row_mask:0xf bank_mask:0xf// 000000006308: 0B2B2AFA FF015910
	v_mul_f32_dpp v150, v16, v150 row_newbcast:10 row_mask:0xf bank_mask:0xf// 000000006310: 0B2D2CFA FF015A10
	v_mul_f32_dpp v151, v16, v151 row_newbcast:11 row_mask:0xf bank_mask:0xf// 000000006318: 0B2F2EFA FF015B10
	v_mul_f32_dpp v152, v16, v152 row_newbcast:12 row_mask:0xf bank_mask:0xf// 000000006320: 0B3130FA FF015C10
	v_mul_f32_dpp v153, v16, v153 row_newbcast:13 row_mask:0xf bank_mask:0xf// 000000006328: 0B3332FA FF015D10
	v_mul_f32_dpp v154, v16, v154 row_newbcast:14 row_mask:0xf bank_mask:0xf// 000000006330: 0B3534FA FF015E10
	v_mul_f32_dpp v155, v16, v155 row_newbcast:15 row_mask:0xf bank_mask:0xf// 000000006338: 0B3736FA FF015F10
	v_mul_f32_dpp v156, v16, v156 row_newbcast:12 row_mask:0xf bank_mask:0xf// 000000006340: 0B3938FA FF015C10
	v_mul_f32_dpp v157, v16, v157 row_newbcast:13 row_mask:0xf bank_mask:0xf// 000000006348: 0B3B3AFA FF015D10
	v_mul_f32_dpp v158, v16, v158 row_newbcast:14 row_mask:0xf bank_mask:0xf// 000000006350: 0B3D3CFA FF015E10
	v_mul_f32_dpp v159, v16, v159 row_newbcast:15 row_mask:0xf bank_mask:0xf// 000000006358: 0B3F3EFA FF015F10
	v_lshlrev_b32_e32 v38, 2, v0                               // 000000006360: 244C0082
	s_mul_i32 s60, s82, s71                                    // 000000006364: 923C4752
	v_add_u32_e64 v80, v38, s60                                // 000000006368: D1340050 00007926
	v_mov_b32_e32 v81, 0                                       // 000000006370: 7EA20280
	s_mul_i32 s60, s83, s71                                    // 000000006374: 923C4753
	v_add_u32_e64 v82, v38, s60                                // 000000006378: D1340052 00007926
	v_mov_b32_e32 v83, 0                                       // 000000006380: 7EA60280
	s_mul_i32 s60, s84, s71                                    // 000000006384: 923C4754
	v_add_u32_e64 v84, v38, s60                                // 000000006388: D1340054 00007926
	v_mov_b32_e32 v85, 0                                       // 000000006390: 7EAA0280
	s_mul_i32 s60, s85, s71                                    // 000000006394: 923C4755
	v_add_u32_e64 v86, v38, s60                                // 000000006398: D1340056 00007926
	v_mov_b32_e32 v87, 0                                       // 0000000063A0: 7EAE0280
	s_mul_i32 s60, s86, s71                                    // 0000000063A4: 923C4756
	v_add_u32_e64 v88, v38, s60                                // 0000000063A8: D1340058 00007926
	v_mov_b32_e32 v89, 0                                       // 0000000063B0: 7EB20280
	s_mul_i32 s60, s87, s71                                    // 0000000063B4: 923C4757
	v_add_u32_e64 v90, v38, s60                                // 0000000063B8: D134005A 00007926
	v_mov_b32_e32 v91, 0                                       // 0000000063C0: 7EB60280
	s_mul_i32 s60, s88, s71                                    // 0000000063C4: 923C4758
	v_add_u32_e64 v92, v38, s60                                // 0000000063C8: D134005C 00007926
	v_mov_b32_e32 v93, 0                                       // 0000000063D0: 7EBA0280
	s_mul_i32 s60, s89, s71                                    // 0000000063D4: 923C4759
	v_add_u32_e64 v94, v38, s60                                // 0000000063D8: D134005E 00007926
	v_mov_b32_e32 v95, 0                                       // 0000000063E0: 7EBE0280
	buffer_load_dword v11, v5, s[16:19], 0 offen               // 0000000063E4: E0501000 80040B05
	v_mov_b32_e32 v20, 0x358637bd                              // 0000000063EC: 7E2802FF 358637BD
	v_mov_b32_e32 v21, 0x358637bd                              // 0000000063F4: 7E2A02FF 358637BD
	v_max3_f32 v20, |v128|, |v129|, v20                        // 0000000063FC: D1D30314 04530380
	v_max3_f32 v20, |v130|, |v131|, v20                        // 000000006404: D1D30314 04530782
	v_max3_f32 v21, |v132|, |v133|, v21                        // 00000000640C: D1D30315 04570B84
	v_max3_f32 v21, |v134|, |v135|, v21                        // 000000006414: D1D30315 04570F86
	v_max3_f32 v20, |v136|, |v137|, v20                        // 00000000641C: D1D30314 04531388
	v_max3_f32 v20, |v138|, |v139|, v20                        // 000000006424: D1D30314 0453178A
	v_max3_f32 v21, |v140|, |v141|, v21                        // 00000000642C: D1D30315 04571B8C
	v_max3_f32 v21, |v142|, |v143|, v21                        // 000000006434: D1D30315 04571F8E
	v_max3_f32 v20, |v144|, |v145|, v20                        // 00000000643C: D1D30314 04532390
	v_max3_f32 v20, |v146|, |v147|, v20                        // 000000006444: D1D30314 04532792
	v_max3_f32 v21, |v148|, |v149|, v21                        // 00000000644C: D1D30315 04572B94
	v_max3_f32 v21, |v150|, |v151|, v21                        // 000000006454: D1D30315 04572F96
	v_max3_f32 v20, |v152|, |v153|, v20                        // 00000000645C: D1D30314 04533398
	v_max3_f32 v20, |v154|, |v155|, v20                        // 000000006464: D1D30314 0453379A
	v_max3_f32 v21, |v156|, |v157|, v21                        // 00000000646C: D1D30315 04573B9C
	v_max3_f32 v21, |v158|, |v159|, v21                        // 000000006474: D1D30315 04573F9E
	v_lshlrev_b32_e32 v38, 3, v0                               // 00000000647C: 244C0083
	s_mul_i32 s60, 0x200, s5                                   // 000000006480: 923C05FF 00000200
	v_add_u32_e32 v38, s60, v38                                // 000000006488: 684C4C3C
	ds_write_b64 v38, v[20:21]                                 // 00000000648C: D89A0000 00001426
	s_waitcnt lgkmcnt(0)                                       // 000000006494: BF8CC07F
	s_barrier                                                  // 000000006498: BF8A0000
	v_and_b32_e32 v38, 15, v0                                  // 00000000649C: 264C008F
	v_lshlrev_b32_e32 v38, 3, v38                              // 0000000064A0: 244C4C83
	ds_read_b64 v[96:97], v38                                  // 0000000064A4: D8EC0000 60000026
	ds_read_b64 v[98:99], v38 offset:128                       // 0000000064AC: D8EC0080 62000026
	ds_read_b64 v[100:101], v38 offset:256                     // 0000000064B4: D8EC0100 64000026
	ds_read_b64 v[102:103], v38 offset:384                     // 0000000064BC: D8EC0180 66000026
	ds_read_b64 v[104:105], v38 offset:512                     // 0000000064C4: D8EC0200 68000026
	ds_read_b64 v[106:107], v38 offset:640                     // 0000000064CC: D8EC0280 6A000026
	ds_read_b64 v[108:109], v38 offset:768                     // 0000000064D4: D8EC0300 6C000026
	ds_read_b64 v[110:111], v38 offset:896                     // 0000000064DC: D8EC0380 6E000026
	ds_read_b64 v[112:113], v38 offset:1024                    // 0000000064E4: D8EC0400 70000026
	ds_read_b64 v[114:115], v38 offset:1152                    // 0000000064EC: D8EC0480 72000026
	ds_read_b64 v[116:117], v38 offset:1280                    // 0000000064F4: D8EC0500 74000026
	ds_read_b64 v[118:119], v38 offset:1408                    // 0000000064FC: D8EC0580 76000026
	ds_read_b64 v[120:121], v38 offset:1536                    // 000000006504: D8EC0600 78000026
	ds_read_b64 v[122:123], v38 offset:1664                    // 00000000650C: D8EC0680 7A000026
	ds_read_b64 v[124:125], v38 offset:1792                    // 000000006514: D8EC0700 7C000026
	ds_read_b64 v[126:127], v38 offset:1920                    // 00000000651C: D8EC0780 7E000026
	s_waitcnt lgkmcnt(0)                                       // 000000006524: BF8CC07F
	v_max3_f32 v20, |v96|, |v98|, v20                          // 000000006528: D1D30314 0452C560
	v_max3_f32 v21, |v97|, |v99|, v21                          // 000000006530: D1D30315 0456C761
	v_max3_f32 v20, |v100|, |v102|, v20                        // 000000006538: D1D30314 0452CD64
	v_max3_f32 v21, |v101|, |v103|, v21                        // 000000006540: D1D30315 0456CF65
	v_max3_f32 v20, |v104|, |v106|, v20                        // 000000006548: D1D30314 0452D568
	v_max3_f32 v21, |v105|, |v107|, v21                        // 000000006550: D1D30315 0456D769
	v_max3_f32 v20, |v108|, |v110|, v20                        // 000000006558: D1D30314 0452DD6C
	v_max3_f32 v21, |v109|, |v111|, v21                        // 000000006560: D1D30315 0456DF6D
	v_max3_f32 v20, |v112|, |v114|, v20                        // 000000006568: D1D30314 0452E570
	v_max3_f32 v21, |v113|, |v115|, v21                        // 000000006570: D1D30315 0456E771
	v_max3_f32 v20, |v116|, |v118|, v20                        // 000000006578: D1D30314 0452ED74
	v_max3_f32 v21, |v117|, |v119|, v21                        // 000000006580: D1D30315 0456EF75
	v_max3_f32 v20, |v120|, |v122|, v20                        // 000000006588: D1D30314 0452F578
	v_max3_f32 v21, |v121|, |v123|, v21                        // 000000006590: D1D30315 0456F779
	v_max3_f32 v20, |v124|, |v126|, v20                        // 000000006598: D1D30314 0452FD7C
	v_max3_f32 v21, |v125|, |v127|, v21                        // 0000000065A0: D1D30315 0456FF7D
	v_rcp_f32_e32 v20, v20                                     // 0000000065A8: 7E284514
	v_rcp_f32_e32 v21, v21                                     // 0000000065AC: 7E2A4515
	v_mov_b32_e32 v38, 0x42fe0000                              // 0000000065B0: 7E4C02FF 42FE0000
	v_mul_f32_e32 v20, v38, v20                                // 0000000065B8: 0A282926
	v_mul_f32_e32 v21, v38, v21                                // 0000000065BC: 0A2A2B26
	v_mul_f32_e32 v128, v20, v128                              // 0000000065C0: 0B010114
	v_mul_f32_e32 v129, v20, v129                              // 0000000065C4: 0B030314
	v_mul_f32_e32 v130, v20, v130                              // 0000000065C8: 0B050514
	v_mul_f32_e32 v131, v20, v131                              // 0000000065CC: 0B070714
	v_cvt_i32_f32_e32 v128, v128                               // 0000000065D0: 7F001180
	v_cvt_i32_f32_e32 v129, v129                               // 0000000065D4: 7F021181
	v_cvt_i32_f32_e32 v130, v130                               // 0000000065D8: 7F041182
	v_cvt_i32_f32_e32 v131, v131                               // 0000000065DC: 7F061183
	v_perm_b32 v128, v129, v128, s53                           // 0000000065E0: D1ED0080 00D70181
	v_perm_b32 v128, v130, v128, s54                           // 0000000065E8: D1ED0080 00DB0182
	v_perm_b32 v128, v131, v128, s55                           // 0000000065F0: D1ED0080 00DF0183
	v_mul_f32_e32 v132, v21, v132                              // 0000000065F8: 0B090915
	v_mul_f32_e32 v133, v21, v133                              // 0000000065FC: 0B0B0B15
	v_mul_f32_e32 v134, v21, v134                              // 000000006600: 0B0D0D15
	v_mul_f32_e32 v135, v21, v135                              // 000000006604: 0B0F0F15
	v_cvt_i32_f32_e32 v132, v132                               // 000000006608: 7F081184
	v_cvt_i32_f32_e32 v133, v133                               // 00000000660C: 7F0A1185
	v_cvt_i32_f32_e32 v134, v134                               // 000000006610: 7F0C1186
	v_cvt_i32_f32_e32 v135, v135                               // 000000006614: 7F0E1187
	v_perm_b32 v129, v133, v132, s53                           // 000000006618: D1ED0081 00D70985
	v_perm_b32 v129, v134, v129, s54                           // 000000006620: D1ED0081 00DB0386
	v_perm_b32 v129, v135, v129, s55                           // 000000006628: D1ED0081 00DF0387
	v_mul_f32_e32 v136, v20, v136                              // 000000006630: 0B111114
	v_mul_f32_e32 v137, v20, v137                              // 000000006634: 0B131314
	v_mul_f32_e32 v138, v20, v138                              // 000000006638: 0B151514
	v_mul_f32_e32 v139, v20, v139                              // 00000000663C: 0B171714
	v_cvt_i32_f32_e32 v136, v136                               // 000000006640: 7F101188
	v_cvt_i32_f32_e32 v137, v137                               // 000000006644: 7F121189
	v_cvt_i32_f32_e32 v138, v138                               // 000000006648: 7F14118A
	v_cvt_i32_f32_e32 v139, v139                               // 00000000664C: 7F16118B
	v_perm_b32 v130, v137, v136, s53                           // 000000006650: D1ED0082 00D71189
	v_perm_b32 v130, v138, v130, s54                           // 000000006658: D1ED0082 00DB058A
	v_perm_b32 v130, v139, v130, s55                           // 000000006660: D1ED0082 00DF058B
	v_mul_f32_e32 v140, v21, v140                              // 000000006668: 0B191915
	v_mul_f32_e32 v141, v21, v141                              // 00000000666C: 0B1B1B15
	v_mul_f32_e32 v142, v21, v142                              // 000000006670: 0B1D1D15
	v_mul_f32_e32 v143, v21, v143                              // 000000006674: 0B1F1F15
	v_cvt_i32_f32_e32 v140, v140                               // 000000006678: 7F18118C
	v_cvt_i32_f32_e32 v141, v141                               // 00000000667C: 7F1A118D
	v_cvt_i32_f32_e32 v142, v142                               // 000000006680: 7F1C118E
	v_cvt_i32_f32_e32 v143, v143                               // 000000006684: 7F1E118F
	v_perm_b32 v131, v141, v140, s53                           // 000000006688: D1ED0083 00D7198D
	v_perm_b32 v131, v142, v131, s54                           // 000000006690: D1ED0083 00DB078E
	v_perm_b32 v131, v143, v131, s55                           // 000000006698: D1ED0083 00DF078F
	v_mul_f32_e32 v144, v20, v144                              // 0000000066A0: 0B212114
	v_mul_f32_e32 v145, v20, v145                              // 0000000066A4: 0B232314
	v_mul_f32_e32 v146, v20, v146                              // 0000000066A8: 0B252514
	v_mul_f32_e32 v147, v20, v147                              // 0000000066AC: 0B272714
	v_cvt_i32_f32_e32 v144, v144                               // 0000000066B0: 7F201190
	v_cvt_i32_f32_e32 v145, v145                               // 0000000066B4: 7F221191
	v_cvt_i32_f32_e32 v146, v146                               // 0000000066B8: 7F241192
	v_cvt_i32_f32_e32 v147, v147                               // 0000000066BC: 7F261193
	v_perm_b32 v132, v145, v144, s53                           // 0000000066C0: D1ED0084 00D72191
	v_perm_b32 v132, v146, v132, s54                           // 0000000066C8: D1ED0084 00DB0992
	v_perm_b32 v132, v147, v132, s55                           // 0000000066D0: D1ED0084 00DF0993
	v_mul_f32_e32 v148, v21, v148                              // 0000000066D8: 0B292915
	v_mul_f32_e32 v149, v21, v149                              // 0000000066DC: 0B2B2B15
	v_mul_f32_e32 v150, v21, v150                              // 0000000066E0: 0B2D2D15
	v_mul_f32_e32 v151, v21, v151                              // 0000000066E4: 0B2F2F15
	v_cvt_i32_f32_e32 v148, v148                               // 0000000066E8: 7F281194
	v_cvt_i32_f32_e32 v149, v149                               // 0000000066EC: 7F2A1195
	v_cvt_i32_f32_e32 v150, v150                               // 0000000066F0: 7F2C1196
	v_cvt_i32_f32_e32 v151, v151                               // 0000000066F4: 7F2E1197
	v_perm_b32 v133, v149, v148, s53                           // 0000000066F8: D1ED0085 00D72995
	v_perm_b32 v133, v150, v133, s54                           // 000000006700: D1ED0085 00DB0B96
	v_perm_b32 v133, v151, v133, s55                           // 000000006708: D1ED0085 00DF0B97
	v_mul_f32_e32 v152, v20, v152                              // 000000006710: 0B313114
	v_mul_f32_e32 v153, v20, v153                              // 000000006714: 0B333314
	v_mul_f32_e32 v154, v20, v154                              // 000000006718: 0B353514
	v_mul_f32_e32 v155, v20, v155                              // 00000000671C: 0B373714
	v_cvt_i32_f32_e32 v152, v152                               // 000000006720: 7F301198
	v_cvt_i32_f32_e32 v153, v153                               // 000000006724: 7F321199
	v_cvt_i32_f32_e32 v154, v154                               // 000000006728: 7F34119A
	v_cvt_i32_f32_e32 v155, v155                               // 00000000672C: 7F36119B
	v_perm_b32 v134, v153, v152, s53                           // 000000006730: D1ED0086 00D73199
	v_perm_b32 v134, v154, v134, s54                           // 000000006738: D1ED0086 00DB0D9A
	v_perm_b32 v134, v155, v134, s55                           // 000000006740: D1ED0086 00DF0D9B
	v_mul_f32_e32 v156, v21, v156                              // 000000006748: 0B393915
	v_mul_f32_e32 v157, v21, v157                              // 00000000674C: 0B3B3B15
	v_mul_f32_e32 v158, v21, v158                              // 000000006750: 0B3D3D15
	v_mul_f32_e32 v159, v21, v159                              // 000000006754: 0B3F3F15
	v_cvt_i32_f32_e32 v156, v156                               // 000000006758: 7F38119C
	v_cvt_i32_f32_e32 v157, v157                               // 00000000675C: 7F3A119D
	v_cvt_i32_f32_e32 v158, v158                               // 000000006760: 7F3C119E
	v_cvt_i32_f32_e32 v159, v159                               // 000000006764: 7F3E119F
	v_perm_b32 v135, v157, v156, s53                           // 000000006768: D1ED0087 00D7399D
	v_perm_b32 v135, v158, v135, s54                           // 000000006770: D1ED0087 00DB0F9E
	v_perm_b32 v135, v159, v135, s55                           // 000000006778: D1ED0087 00DF0F9F
	v_rcp_f32_e32 v22, v20                                     // 000000006780: 7E2C4514
	v_rcp_f32_e32 v23, v21                                     // 000000006784: 7E2E4515
	v_lshrrev_b32_e32 v38, 5, v0                               // 000000006788: 204C0085
	v_lshlrev_b32_e32 v39, 5, v38                              // 00000000678C: 244E4C85
	v_and_b32_e32 v38, 31, v0                                  // 000000006790: 264C009F
	v_lshrrev_b32_e32 v40, 4, v38                              // 000000006794: 20504C84
	v_add_u32_e32 v39, v40, v39                                // 000000006798: 684E4F28
	v_and_b32_e32 v38, 15, v0                                  // 00000000679C: 264C008F
	v_lshlrev_b32_e32 v38, 1, v38                              // 0000000067A0: 244C4C81
	v_add_u32_e32 v39, v38, v39                                // 0000000067A4: 684E4F26
	v_lshlrev_b32_e32 v38, 2, v39                              // 0000000067A8: 244C4E82
	s_mul_i32 s60, 0x100, s5                                   // 0000000067AC: 923C05FF 00000100
	v_add_u32_e64 v38, v38, s60                                // 0000000067B4: D1340026 00007926
	ds_write_b32 v38, v128 offset:2048                         // 0000000067BC: D81A0800 00008026
	ds_write_b32 v38, v129 offset:6144                         // 0000000067C4: D81A1800 00008126
	ds_write_b32 v38, v130 offset:3072                         // 0000000067CC: D81A0C00 00008226
	ds_write_b32 v38, v131 offset:7168                         // 0000000067D4: D81A1C00 00008326
	ds_write_b32 v38, v132 offset:4096                         // 0000000067DC: D81A1000 00008426
	ds_write_b32 v38, v133 offset:8192                         // 0000000067E4: D81A2000 00008526
	ds_write_b32 v38, v134 offset:5120                         // 0000000067EC: D81A1400 00008626
	ds_write_b32 v38, v135 offset:9216                         // 0000000067F4: D81A2400 00008726
	s_waitcnt lgkmcnt(0)                                       // 0000000067FC: BF8CC07F
	s_barrier                                                  // 000000006800: BF8A0000
	v_lshrrev_b32_e32 v38, 4, v0                               // 000000006804: 204C0084
	v_lshlrev_b32_e32 v39, 6, v38                              // 000000006808: 244E4C86
	v_and_b32_e32 v38, 15, v0                                  // 00000000680C: 264C008F
	v_lshlrev_b32_e32 v38, 1, v38                              // 000000006810: 244C4C81
	v_add_u32_e32 v39, v38, v39                                // 000000006814: 684E4F26
	v_lshlrev_b32_e32 v38, 2, v39                              // 000000006818: 244C4E82
	ds_read_b64 v[128:129], v38 offset:2048                    // 00000000681C: D8EC0800 80000026
	ds_read_b64 v[130:131], v38 offset:2176                    // 000000006824: D8EC0880 82000026
	ds_read_b64 v[132:133], v38 offset:3072                    // 00000000682C: D8EC0C00 84000026
	ds_read_b64 v[134:135], v38 offset:3200                    // 000000006834: D8EC0C80 86000026
	ds_read_b64 v[136:137], v38 offset:4096                    // 00000000683C: D8EC1000 88000026
	ds_read_b64 v[138:139], v38 offset:4224                    // 000000006844: D8EC1080 8A000026
	ds_read_b64 v[140:141], v38 offset:5120                    // 00000000684C: D8EC1400 8C000026
	ds_read_b64 v[142:143], v38 offset:5248                    // 000000006854: D8EC1480 8E000026
	ds_read_b64 v[144:145], v38 offset:6144                    // 00000000685C: D8EC1800 90000026
	ds_read_b64 v[146:147], v38 offset:6272                    // 000000006864: D8EC1880 92000026
	ds_read_b64 v[148:149], v38 offset:7168                    // 00000000686C: D8EC1C00 94000026
	ds_read_b64 v[150:151], v38 offset:7296                    // 000000006874: D8EC1C80 96000026
	ds_read_b64 v[152:153], v38 offset:8192                    // 00000000687C: D8EC2000 98000026
	ds_read_b64 v[154:155], v38 offset:8320                    // 000000006884: D8EC2080 9A000026
	ds_read_b64 v[156:157], v38 offset:9216                    // 00000000688C: D8EC2400 9C000026
	ds_read_b64 v[158:159], v38 offset:9344                    // 000000006894: D8EC2480 9E000026
	s_add_u32 s12, s56, s12                                    // 00000000689C: 800C0C38
	s_addc_u32 s13, 0, s13                                     // 0000000068A0: 820D0D80
	s_add_u32 s16, s79, s16                                    // 0000000068A4: 8010104F
	s_addc_u32 s17, 0, s17                                     // 0000000068A8: 82111180
	s_waitcnt lgkmcnt(0)                                       // 0000000068AC: BF8CC07F
	s_barrier                                                  // 0000000068B0: BF8A0000
	v_mov_b32_e32 v160, 0                                      // 0000000068B4: 7F400280
	v_mov_b32_e32 v192, 0                                      // 0000000068B8: 7F800280
	v_mov_b32_e32 v161, 0                                      // 0000000068BC: 7F420280
	v_mov_b32_e32 v193, 0                                      // 0000000068C0: 7F820280
	v_mov_b32_e32 v162, 0                                      // 0000000068C4: 7F440280
	v_mov_b32_e32 v194, 0                                      // 0000000068C8: 7F840280
	v_mov_b32_e32 v163, 0                                      // 0000000068CC: 7F460280
	v_mov_b32_e32 v195, 0                                      // 0000000068D0: 7F860280
	v_mov_b32_e32 v164, 0                                      // 0000000068D4: 7F480280
	v_mov_b32_e32 v196, 0                                      // 0000000068D8: 7F880280
	v_mov_b32_e32 v165, 0                                      // 0000000068DC: 7F4A0280
	v_mov_b32_e32 v197, 0                                      // 0000000068E0: 7F8A0280
	v_mov_b32_e32 v166, 0                                      // 0000000068E4: 7F4C0280
	v_mov_b32_e32 v198, 0                                      // 0000000068E8: 7F8C0280
	v_mov_b32_e32 v167, 0                                      // 0000000068EC: 7F4E0280
	v_mov_b32_e32 v199, 0                                      // 0000000068F0: 7F8E0280
	v_mov_b32_e32 v168, 0                                      // 0000000068F4: 7F500280
	v_mov_b32_e32 v200, 0                                      // 0000000068F8: 7F900280
	v_mov_b32_e32 v169, 0                                      // 0000000068FC: 7F520280
	v_mov_b32_e32 v201, 0                                      // 000000006900: 7F920280
	v_mov_b32_e32 v170, 0                                      // 000000006904: 7F540280
	v_mov_b32_e32 v202, 0                                      // 000000006908: 7F940280
	v_mov_b32_e32 v171, 0                                      // 00000000690C: 7F560280
	v_mov_b32_e32 v203, 0                                      // 000000006910: 7F960280
	v_mov_b32_e32 v172, 0                                      // 000000006914: 7F580280
	v_mov_b32_e32 v204, 0                                      // 000000006918: 7F980280
	v_mov_b32_e32 v173, 0                                      // 00000000691C: 7F5A0280
	v_mov_b32_e32 v205, 0                                      // 000000006920: 7F9A0280
	v_mov_b32_e32 v174, 0                                      // 000000006924: 7F5C0280
	v_mov_b32_e32 v206, 0                                      // 000000006928: 7F9C0280
	v_mov_b32_e32 v175, 0                                      // 00000000692C: 7F5E0280
	v_mov_b32_e32 v207, 0                                      // 000000006930: 7F9E0280
	ds_write_b64 v3, v[160:161] offset:2048                    // 000000006934: D89A0800 0000A003
	ds_write_b64 v3, v[162:163] offset:10752                   // 00000000693C: D89A2A00 0000A203
	ds_write_b64 v3, v[164:165] offset:4224                    // 000000006944: D89A1080 0000A403
	ds_write_b64 v3, v[166:167] offset:12928                   // 00000000694C: D89A3280 0000A603
	ds_write_b64 v3, v[168:169] offset:6400                    // 000000006954: D89A1900 0000A803
	ds_write_b64 v3, v[170:171] offset:15104                   // 00000000695C: D89A3B00 0000AA03
	ds_write_b64 v3, v[172:173] offset:8576                    // 000000006964: D89A2180 0000AC03
	ds_write_b64 v3, v[174:175] offset:17280                   // 00000000696C: D89A4380 0000AE03
	s_mov_b32 s80, 0                                           // 000000006974: BED00080
	s_waitcnt vmcnt(0) expcnt(0) lgkmcnt(0)                    // 000000006978: BF8C0000

000000000000697c <label_0EDF>:
	s_waitcnt vmcnt(13) lgkmcnt(0)                             // 00000000697C: BF8C007D
	s_barrier                                                  // 000000006980: BF8A0000
	v_mfma_i32_16x16x32_i8 v[160:163], a[0:1], v[128:129], 0   // 000000006984: D3D700A0 0A030100
	ds_read_b32 v64, v4 offset:2048                            // 00000000698C: D86C0800 40000004
	ds_read_b32 v65, v4 offset:6400                            // 000000006994: D86C1900 41000004
	v_mfma_i32_16x16x32_i8 v[160:163], a[2:3], v[130:131], v[160:163]// 00000000699C: D3D700A0 0E830502
	buffer_load_dwordx4 a[64:67], v42, s[12:15], 0 offen       // 0000000069A4: E05C1000 8083402A
	v_mfma_i32_16x16x32_i8 v[164:167], a[0:1], v[144:145], 0   // 0000000069AC: D3D700A4 0A032100
	ds_read_b32 v66, v4 offset:2080                            // 0000000069B4: D86C0820 42000004
	ds_read_b32 v67, v4 offset:6432                            // 0000000069BC: D86C1920 43000004
	v_mfma_i32_16x16x32_i8 v[164:167], a[2:3], v[146:147], v[164:167]// 0000000069C4: D3D700A4 0E932502
	v_mfma_i32_16x16x32_i8 v[168:171], a[4:5], v[128:129], 0   // 0000000069CC: D3D700A8 0A030104
	ds_read_b32 v68, v4 offset:2112                            // 0000000069D4: D86C0840 44000004
	ds_read_b32 v69, v4 offset:6464                            // 0000000069DC: D86C1940 45000004
	v_mfma_i32_16x16x32_i8 v[168:171], a[6:7], v[130:131], v[168:171]// 0000000069E4: D3D700A8 0EA30506
	buffer_load_dwordx4 a[68:71], v43, s[12:15], 0 offen       // 0000000069EC: E05C1000 8083442B
	v_mfma_i32_16x16x32_i8 v[172:175], a[4:5], v[144:145], 0   // 0000000069F4: D3D700AC 0A032104
	ds_read_b32 v70, v4 offset:2144                            // 0000000069FC: D86C0860 46000004
	ds_read_b32 v71, v4 offset:6496                            // 000000006A04: D86C1960 47000004
	v_mfma_i32_16x16x32_i8 v[172:175], a[6:7], v[146:147], v[172:175]// 000000006A0C: D3D700AC 0EB32506
	v_mfma_i32_16x16x32_i8 v[176:179], a[8:9], v[128:129], 0   // 000000006A14: D3D700B0 0A030108
	ds_read_b32 v72, v4 offset:10752                           // 000000006A1C: D86C2A00 48000004
	ds_read_b32 v73, v4 offset:15104                           // 000000006A24: D86C3B00 49000004
	v_mfma_i32_16x16x32_i8 v[176:179], a[10:11], v[130:131], v[176:179]// 000000006A2C: D3D700B0 0EC3050A
	buffer_load_dwordx4 a[72:75], v44, s[12:15], 0 offen       // 000000006A34: E05C1000 8083482C
	v_mfma_i32_16x16x32_i8 v[180:183], a[8:9], v[144:145], 0   // 000000006A3C: D3D700B4 0A032108
	ds_read_b32 v74, v4 offset:10784                           // 000000006A44: D86C2A20 4A000004
	ds_read_b32 v75, v4 offset:15136                           // 000000006A4C: D86C3B20 4B000004
	v_mfma_i32_16x16x32_i8 v[180:183], a[10:11], v[146:147], v[180:183]// 000000006A54: D3D700B4 0ED3250A
	v_mfma_i32_16x16x32_i8 v[184:187], a[12:13], v[128:129], 0 // 000000006A5C: D3D700B8 0A03010C
	ds_read_b32 v76, v4 offset:10816                           // 000000006A64: D86C2A40 4C000004
	ds_read_b32 v77, v4 offset:15168                           // 000000006A6C: D86C3B40 4D000004
	v_mfma_i32_16x16x32_i8 v[184:187], a[14:15], v[130:131], v[184:187]// 000000006A74: D3D700B8 0EE3050E
	buffer_load_dwordx4 a[76:79], v45, s[12:15], 0 offen       // 000000006A7C: E05C1000 80834C2D
	s_add_u32 s12, s78, s12                                    // 000000006A84: 800C0C4E
	s_addc_u32 s13, 0, s13                                     // 000000006A88: 820D0D80
	v_mfma_i32_16x16x32_i8 v[188:191], a[12:13], v[144:145], 0 // 000000006A8C: D3D700BC 0A03210C
	ds_read_b32 v78, v4 offset:10848                           // 000000006A94: D86C2A60 4E000004
	ds_read_b32 v79, v4 offset:15200                           // 000000006A9C: D86C3B60 4F000004
	v_mfma_i32_16x16x32_i8 v[188:191], a[14:15], v[146:147], v[188:191]// 000000006AA4: D3D700BC 0EF3250E
	s_waitcnt vmcnt(13)                                        // 000000006AAC: BF8C0F7D
	v_mfma_i32_16x16x32_i8 v[160:163], a[16:17], v[132:133], v[160:163]// 000000006AB0: D3D700A0 0E830910
	v_mfma_i32_16x16x32_i8 v[160:163], a[18:19], v[134:135], v[160:163]// 000000006AB8: D3D700A0 0E830D12
	buffer_load_dwordx4 a[80:83], v42, s[12:15], 0 offen       // 000000006AC0: E05C1000 8083502A
	v_mfma_i32_16x16x32_i8 v[164:167], a[16:17], v[148:149], v[164:167]// 000000006AC8: D3D700A4 0E932910
	v_mfma_i32_16x16x32_i8 v[164:167], a[18:19], v[150:151], v[164:167]// 000000006AD0: D3D700A4 0E932D12
	v_mfma_i32_16x16x32_i8 v[168:171], a[20:21], v[132:133], v[168:171]// 000000006AD8: D3D700A8 0EA30914
	v_mfma_i32_16x16x32_i8 v[168:171], a[22:23], v[134:135], v[168:171]// 000000006AE0: D3D700A8 0EA30D16
	buffer_load_dwordx4 a[84:87], v43, s[12:15], 0 offen       // 000000006AE8: E05C1000 8083542B
	v_mfma_i32_16x16x32_i8 v[172:175], a[20:21], v[148:149], v[172:175]// 000000006AF0: D3D700AC 0EB32914
	v_mfma_i32_16x16x32_i8 v[172:175], a[22:23], v[150:151], v[172:175]// 000000006AF8: D3D700AC 0EB32D16
	v_mfma_i32_16x16x32_i8 v[176:179], a[24:25], v[132:133], v[176:179]// 000000006B00: D3D700B0 0EC30918
	v_mfma_i32_16x16x32_i8 v[176:179], a[26:27], v[134:135], v[176:179]// 000000006B08: D3D700B0 0EC30D1A
	buffer_load_dwordx4 a[88:91], v44, s[12:15], 0 offen       // 000000006B10: E05C1000 8083582C
	v_mfma_i32_16x16x32_i8 v[180:183], a[24:25], v[148:149], v[180:183]// 000000006B18: D3D700B4 0ED32918
	v_mfma_i32_16x16x32_i8 v[180:183], a[26:27], v[150:151], v[180:183]// 000000006B20: D3D700B4 0ED32D1A
	v_mfma_i32_16x16x32_i8 v[184:187], a[28:29], v[132:133], v[184:187]// 000000006B28: D3D700B8 0EE3091C
	v_mfma_i32_16x16x32_i8 v[184:187], a[30:31], v[134:135], v[184:187]// 000000006B30: D3D700B8 0EE30D1E
	buffer_load_dwordx4 a[92:95], v45, s[12:15], 0 offen       // 000000006B38: E05C1000 80835C2D
	s_add_u32 s12, s78, s12                                    // 000000006B40: 800C0C4E
	s_addc_u32 s13, 0, s13                                     // 000000006B44: 820D0D80
	v_mfma_i32_16x16x32_i8 v[188:191], a[28:29], v[148:149], v[188:191]// 000000006B48: D3D700BC 0EF3291C
	v_mfma_i32_16x16x32_i8 v[188:191], a[30:31], v[150:151], v[188:191]// 000000006B50: D3D700BC 0EF32D1E
	s_waitcnt vmcnt(13)                                        // 000000006B58: BF8C0F7D
	v_mfma_i32_16x16x32_i8 v[160:163], a[32:33], v[136:137], v[160:163]// 000000006B5C: D3D700A0 0E831120
	ds_write_b64 v3, v[192:193] offset:19456                   // 000000006B64: D89A4C00 0000C003
	v_mfma_i32_16x16x32_i8 v[160:163], a[34:35], v[138:139], v[160:163]// 000000006B6C: D3D700A0 0E831522
	buffer_load_dwordx4 a[96:99], v42, s[12:15], 0 offen       // 000000006B74: E05C1000 8083602A
	v_mfma_i32_16x16x32_i8 v[164:167], a[32:33], v[152:153], v[164:167]// 000000006B7C: D3D700A4 0E933120
	ds_write_b64 v3, v[194:195] offset:28160                   // 000000006B84: D89A6E00 0000C203
	v_mfma_i32_16x16x32_i8 v[164:167], a[34:35], v[154:155], v[164:167]// 000000006B8C: D3D700A4 0E933522
	v_mfma_i32_16x16x32_i8 v[168:171], a[36:37], v[136:137], v[168:171]// 000000006B94: D3D700A8 0EA31124
	ds_write_b64 v3, v[196:197] offset:21632                   // 000000006B9C: D89A5480 0000C403
	v_mfma_i32_16x16x32_i8 v[168:171], a[38:39], v[138:139], v[168:171]// 000000006BA4: D3D700A8 0EA31526
	buffer_load_dwordx4 a[100:103], v43, s[12:15], 0 offen     // 000000006BAC: E05C1000 8083642B
	v_mfma_i32_16x16x32_i8 v[172:175], a[36:37], v[152:153], v[172:175]// 000000006BB4: D3D700AC 0EB33124
	ds_write_b64 v3, v[198:199] offset:30336                   // 000000006BBC: D89A7680 0000C603
	v_mfma_i32_16x16x32_i8 v[172:175], a[38:39], v[154:155], v[172:175]// 000000006BC4: D3D700AC 0EB33526
	v_mfma_i32_16x16x32_i8 v[176:179], a[40:41], v[136:137], v[176:179]// 000000006BCC: D3D700B0 0EC31128
	ds_write_b64 v3, v[200:201] offset:23808                   // 000000006BD4: D89A5D00 0000C803
	v_mfma_i32_16x16x32_i8 v[176:179], a[42:43], v[138:139], v[176:179]// 000000006BDC: D3D700B0 0EC3152A
	buffer_load_dwordx4 a[104:107], v44, s[12:15], 0 offen     // 000000006BE4: E05C1000 8083682C
	v_mfma_i32_16x16x32_i8 v[180:183], a[40:41], v[152:153], v[180:183]// 000000006BEC: D3D700B4 0ED33128
	ds_write_b64 v3, v[202:203] offset:32512                   // 000000006BF4: D89A7F00 0000CA03
	v_mfma_i32_16x16x32_i8 v[180:183], a[42:43], v[154:155], v[180:183]// 000000006BFC: D3D700B4 0ED3352A
	v_mfma_i32_16x16x32_i8 v[184:187], a[44:45], v[136:137], v[184:187]// 000000006C04: D3D700B8 0EE3112C
	ds_write_b64 v3, v[204:205] offset:25984                   // 000000006C0C: D89A6580 0000CC03
	v_mfma_i32_16x16x32_i8 v[184:187], a[46:47], v[138:139], v[184:187]// 000000006C14: D3D700B8 0EE3152E
	buffer_load_dwordx4 a[108:111], v45, s[12:15], 0 offen     // 000000006C1C: E05C1000 80836C2D
	s_add_u32 s12, s78, s12                                    // 000000006C24: 800C0C4E
	s_addc_u32 s13, 0, s13                                     // 000000006C28: 820D0D80
	v_mfma_i32_16x16x32_i8 v[188:191], a[44:45], v[152:153], v[188:191]// 000000006C2C: D3D700BC 0EF3312C
	ds_write_b64 v3, v[206:207] offset:34688                   // 000000006C34: D89A8780 0000CE03
	v_mfma_i32_16x16x32_i8 v[188:191], a[46:47], v[154:155], v[188:191]// 000000006C3C: D3D700BC 0EF3352E
	s_waitcnt vmcnt(12)                                        // 000000006C44: BF8C0F7C
	v_mfma_i32_16x16x32_i8 v[160:163], a[48:49], v[140:141], v[160:163]// 000000006C48: D3D700A0 0E831930
	v_mfma_i32_16x16x32_i8 v[160:163], a[50:51], v[142:143], v[160:163]// 000000006C50: D3D700A0 0E831D32
	buffer_load_dwordx4 a[112:115], v42, s[12:15], 0 offen     // 000000006C58: E05C1000 8083702A
	v_mfma_i32_16x16x32_i8 v[164:167], a[48:49], v[156:157], v[164:167]// 000000006C60: D3D700A4 0E933930
	v_mfma_i32_16x16x32_i8 v[164:167], a[50:51], v[158:159], v[164:167]// 000000006C68: D3D700A4 0E933D32
	buffer_load_dword v12, v5, s[16:19], 0 offen               // 000000006C70: E0501000 80040C05
	v_mfma_i32_16x16x32_i8 v[168:171], a[52:53], v[140:141], v[168:171]// 000000006C78: D3D700A8 0EA31934
	v_mfma_i32_16x16x32_i8 v[168:171], a[54:55], v[142:143], v[168:171]// 000000006C80: D3D700A8 0EA31D36
	buffer_load_dwordx4 a[116:119], v43, s[12:15], 0 offen     // 000000006C88: E05C1000 8083742B
	v_mfma_i32_16x16x32_i8 v[172:175], a[52:53], v[156:157], v[172:175]// 000000006C90: D3D700AC 0EB33934
	v_mfma_i32_16x16x32_i8 v[172:175], a[54:55], v[158:159], v[172:175]// 000000006C98: D3D700AC 0EB33D36
	v_mfma_i32_16x16x32_i8 v[176:179], a[56:57], v[140:141], v[176:179]// 000000006CA0: D3D700B0 0EC31938
	v_mfma_i32_16x16x32_i8 v[176:179], a[58:59], v[142:143], v[176:179]// 000000006CA8: D3D700B0 0EC31D3A
	buffer_load_dwordx4 a[120:123], v44, s[12:15], 0 offen     // 000000006CB0: E05C1000 8083782C
	v_mfma_i32_16x16x32_i8 v[180:183], a[56:57], v[156:157], v[180:183]// 000000006CB8: D3D700B4 0ED33938
	v_mfma_i32_16x16x32_i8 v[180:183], a[58:59], v[158:159], v[180:183]// 000000006CC0: D3D700B4 0ED33D3A
	v_mfma_i32_16x16x32_i8 v[184:187], a[60:61], v[140:141], v[184:187]// 000000006CC8: D3D700B8 0EE3193C
	v_mfma_i32_16x16x32_i8 v[184:187], a[62:63], v[142:143], v[184:187]// 000000006CD0: D3D700B8 0EE31D3E
	buffer_load_dwordx4 a[124:127], v45, s[12:15], 0 offen     // 000000006CD8: E05C1000 80837C2D
	v_mfma_i32_16x16x32_i8 v[188:191], a[60:61], v[156:157], v[188:191]// 000000006CE0: D3D700BC 0EF3393C
	v_mfma_i32_16x16x32_i8 v[188:191], a[62:63], v[158:159], v[188:191]// 000000006CE8: D3D700BC 0EF33D3E
	s_add_u32 s60, 0x200, s80                                  // 000000006CF0: 803C50FF 00000200
	s_cmp_lt_u32 s60, s81                                      // 000000006CF8: BF0A513C
	s_cselect_b32 s56, s56, 0                                  // 000000006CFC: 85388038
	s_cselect_b32 s78, s78, 0                                  // 000000006D00: 854E804E
	s_cselect_b32 s79, s79, 0                                  // 000000006D04: 854F804F
	s_add_u32 s12, s56, s12                                    // 000000006D08: 800C0C38
	s_addc_u32 s13, 0, s13                                     // 000000006D0C: 820D0D80
	s_add_u32 s16, s79, s16                                    // 000000006D10: 8010104F
	s_addc_u32 s17, 0, s17                                     // 000000006D14: 82111180
	v_mov_b32_e32 v38, v22                                     // 000000006D18: 7E4C0316
	v_mov_b32_e32 v40, v17                                     // 000000006D1C: 7E500311
	v_mov_b32_e32 v39, v38                                     // 000000006D20: 7E4E0326
	v_mov_b32_e32 v41, v40                                     // 000000006D24: 7E520328
	v_cvt_f32_i32_e32 v160, v160                               // 000000006D28: 7F400BA0
	v_cvt_f32_i32_e32 v161, v161                               // 000000006D2C: 7F420BA1
	v_cvt_f32_i32_e32 v162, v162                               // 000000006D30: 7F440BA2
	v_cvt_f32_i32_e32 v163, v163                               // 000000006D34: 7F460BA3
	v_pk_mul_f32 v[160:161], v[38:39], v[160:161]              // 000000006D38: D3B140A0 18034126
	v_pk_mul_f32 v[162:163], v[38:39], v[162:163]              // 000000006D40: D3B140A2 18034526
	v_mul_f32_dpp v160, v11, v160 row_newbcast:0 row_mask:0xf bank_mask:0xf// 000000006D48: 0B4140FA FF01500B
	v_mul_f32_dpp v161, v11, v161 row_newbcast:1 row_mask:0xf bank_mask:0xf// 000000006D50: 0B4342FA FF01510B
	v_mul_f32_dpp v162, v11, v162 row_newbcast:2 row_mask:0xf bank_mask:0xf// 000000006D58: 0B4544FA FF01520B
	v_mul_f32_dpp v163, v11, v163 row_newbcast:3 row_mask:0xf bank_mask:0xf// 000000006D60: 0B4746FA FF01530B
	v_pk_mul_f32 v[160:161], v[40:41], v[160:161]              // 000000006D68: D3B140A0 18034128
	v_pk_mul_f32 v[162:163], v[40:41], v[162:163]              // 000000006D70: D3B140A2 18034528
	v_cvt_f32_i32_e32 v168, v168                               // 000000006D78: 7F500BA8
	v_cvt_f32_i32_e32 v169, v169                               // 000000006D7C: 7F520BA9
	v_cvt_f32_i32_e32 v170, v170                               // 000000006D80: 7F540BAA
	v_cvt_f32_i32_e32 v171, v171                               // 000000006D84: 7F560BAB
	v_pk_mul_f32 v[168:169], v[38:39], v[168:169]              // 000000006D88: D3B140A8 18035126
	v_pk_mul_f32 v[170:171], v[38:39], v[170:171]              // 000000006D90: D3B140AA 18035526
	v_mul_f32_dpp v168, v11, v168 row_newbcast:4 row_mask:0xf bank_mask:0xf// 000000006D98: 0B5150FA FF01540B
	v_mul_f32_dpp v169, v11, v169 row_newbcast:5 row_mask:0xf bank_mask:0xf// 000000006DA0: 0B5352FA FF01550B
	v_mul_f32_dpp v170, v11, v170 row_newbcast:6 row_mask:0xf bank_mask:0xf// 000000006DA8: 0B5554FA FF01560B
	v_mul_f32_dpp v171, v11, v171 row_newbcast:7 row_mask:0xf bank_mask:0xf// 000000006DB0: 0B5756FA FF01570B
	v_pk_mul_f32 v[168:169], v[40:41], v[168:169]              // 000000006DB8: D3B140A8 18035128
	v_pk_mul_f32 v[170:171], v[40:41], v[170:171]              // 000000006DC0: D3B140AA 18035528
	v_cvt_f32_i32_e32 v176, v176                               // 000000006DC8: 7F600BB0
	v_cvt_f32_i32_e32 v177, v177                               // 000000006DCC: 7F620BB1
	v_cvt_f32_i32_e32 v178, v178                               // 000000006DD0: 7F640BB2
	v_cvt_f32_i32_e32 v179, v179                               // 000000006DD4: 7F660BB3
	v_pk_mul_f32 v[176:177], v[38:39], v[176:177]              // 000000006DD8: D3B140B0 18036126
	v_pk_mul_f32 v[178:179], v[38:39], v[178:179]              // 000000006DE0: D3B140B2 18036526
	v_mul_f32_dpp v176, v11, v176 row_newbcast:8 row_mask:0xf bank_mask:0xf// 000000006DE8: 0B6160FA FF01580B
	v_mul_f32_dpp v177, v11, v177 row_newbcast:9 row_mask:0xf bank_mask:0xf// 000000006DF0: 0B6362FA FF01590B
	v_mul_f32_dpp v178, v11, v178 row_newbcast:10 row_mask:0xf bank_mask:0xf// 000000006DF8: 0B6564FA FF015A0B
	v_mul_f32_dpp v179, v11, v179 row_newbcast:11 row_mask:0xf bank_mask:0xf// 000000006E00: 0B6766FA FF015B0B
	v_pk_mul_f32 v[176:177], v[40:41], v[176:177]              // 000000006E08: D3B140B0 18036128
	v_pk_mul_f32 v[178:179], v[40:41], v[178:179]              // 000000006E10: D3B140B2 18036528
	v_cvt_f32_i32_e32 v184, v184                               // 000000006E18: 7F700BB8
	v_cvt_f32_i32_e32 v185, v185                               // 000000006E1C: 7F720BB9
	v_cvt_f32_i32_e32 v186, v186                               // 000000006E20: 7F740BBA
	v_cvt_f32_i32_e32 v187, v187                               // 000000006E24: 7F760BBB
	v_pk_mul_f32 v[184:185], v[38:39], v[184:185]              // 000000006E28: D3B140B8 18037126
	v_pk_mul_f32 v[186:187], v[38:39], v[186:187]              // 000000006E30: D3B140BA 18037526
	v_mul_f32_dpp v184, v11, v184 row_newbcast:12 row_mask:0xf bank_mask:0xf// 000000006E38: 0B7170FA FF015C0B
	v_mul_f32_dpp v185, v11, v185 row_newbcast:13 row_mask:0xf bank_mask:0xf// 000000006E40: 0B7372FA FF015D0B
	v_mul_f32_dpp v186, v11, v186 row_newbcast:14 row_mask:0xf bank_mask:0xf// 000000006E48: 0B7574FA FF015E0B
	v_mul_f32_dpp v187, v11, v187 row_newbcast:15 row_mask:0xf bank_mask:0xf// 000000006E50: 0B7776FA FF015F0B
	v_pk_mul_f32 v[184:185], v[40:41], v[184:185]              // 000000006E58: D3B140B8 18037128
	v_pk_mul_f32 v[186:187], v[40:41], v[186:187]              // 000000006E60: D3B140BA 18037528
	v_mov_b32_e32 v38, v23                                     // 000000006E68: 7E4C0317
	v_mov_b32_e32 v40, v18                                     // 000000006E6C: 7E500312
	v_mov_b32_e32 v39, v38                                     // 000000006E70: 7E4E0326
	v_mov_b32_e32 v41, v40                                     // 000000006E74: 7E520328
	v_cvt_f32_i32_e32 v164, v164                               // 000000006E78: 7F480BA4
	v_cvt_f32_i32_e32 v165, v165                               // 000000006E7C: 7F4A0BA5
	v_cvt_f32_i32_e32 v166, v166                               // 000000006E80: 7F4C0BA6
	v_cvt_f32_i32_e32 v167, v167                               // 000000006E84: 7F4E0BA7
	v_pk_mul_f32 v[164:165], v[38:39], v[164:165]              // 000000006E88: D3B140A4 18034926
	v_pk_mul_f32 v[166:167], v[38:39], v[166:167]              // 000000006E90: D3B140A6 18034D26
	v_mul_f32_dpp v164, v11, v164 row_newbcast:0 row_mask:0xf bank_mask:0xf// 000000006E98: 0B4948FA FF01500B
	v_mul_f32_dpp v165, v11, v165 row_newbcast:1 row_mask:0xf bank_mask:0xf// 000000006EA0: 0B4B4AFA FF01510B
	v_mul_f32_dpp v166, v11, v166 row_newbcast:2 row_mask:0xf bank_mask:0xf// 000000006EA8: 0B4D4CFA FF01520B
	v_mul_f32_dpp v167, v11, v167 row_newbcast:3 row_mask:0xf bank_mask:0xf// 000000006EB0: 0B4F4EFA FF01530B
	v_pk_mul_f32 v[164:165], v[40:41], v[164:165]              // 000000006EB8: D3B140A4 18034928
	v_pk_mul_f32 v[166:167], v[40:41], v[166:167]              // 000000006EC0: D3B140A6 18034D28
	v_cvt_f32_i32_e32 v172, v172                               // 000000006EC8: 7F580BAC
	v_cvt_f32_i32_e32 v173, v173                               // 000000006ECC: 7F5A0BAD
	v_cvt_f32_i32_e32 v174, v174                               // 000000006ED0: 7F5C0BAE
	v_cvt_f32_i32_e32 v175, v175                               // 000000006ED4: 7F5E0BAF
	v_pk_mul_f32 v[172:173], v[38:39], v[172:173]              // 000000006ED8: D3B140AC 18035926
	v_pk_mul_f32 v[174:175], v[38:39], v[174:175]              // 000000006EE0: D3B140AE 18035D26
	v_mul_f32_dpp v172, v11, v172 row_newbcast:4 row_mask:0xf bank_mask:0xf// 000000006EE8: 0B5958FA FF01540B
	v_mul_f32_dpp v173, v11, v173 row_newbcast:5 row_mask:0xf bank_mask:0xf// 000000006EF0: 0B5B5AFA FF01550B
	v_mul_f32_dpp v174, v11, v174 row_newbcast:6 row_mask:0xf bank_mask:0xf// 000000006EF8: 0B5D5CFA FF01560B
	v_mul_f32_dpp v175, v11, v175 row_newbcast:7 row_mask:0xf bank_mask:0xf// 000000006F00: 0B5F5EFA FF01570B
	v_pk_mul_f32 v[172:173], v[40:41], v[172:173]              // 000000006F08: D3B140AC 18035928
	v_pk_mul_f32 v[174:175], v[40:41], v[174:175]              // 000000006F10: D3B140AE 18035D28
	v_cvt_f32_i32_e32 v180, v180                               // 000000006F18: 7F680BB4
	v_cvt_f32_i32_e32 v181, v181                               // 000000006F1C: 7F6A0BB5
	v_cvt_f32_i32_e32 v182, v182                               // 000000006F20: 7F6C0BB6
	v_cvt_f32_i32_e32 v183, v183                               // 000000006F24: 7F6E0BB7
	v_pk_mul_f32 v[180:181], v[38:39], v[180:181]              // 000000006F28: D3B140B4 18036926
	v_pk_mul_f32 v[182:183], v[38:39], v[182:183]              // 000000006F30: D3B140B6 18036D26
	v_mul_f32_dpp v180, v11, v180 row_newbcast:8 row_mask:0xf bank_mask:0xf// 000000006F38: 0B6968FA FF01580B
	v_mul_f32_dpp v181, v11, v181 row_newbcast:9 row_mask:0xf bank_mask:0xf// 000000006F40: 0B6B6AFA FF01590B
	v_mul_f32_dpp v182, v11, v182 row_newbcast:10 row_mask:0xf bank_mask:0xf// 000000006F48: 0B6D6CFA FF015A0B
	v_mul_f32_dpp v183, v11, v183 row_newbcast:11 row_mask:0xf bank_mask:0xf// 000000006F50: 0B6F6EFA FF015B0B
	v_pk_mul_f32 v[180:181], v[40:41], v[180:181]              // 000000006F58: D3B140B4 18036928
	v_pk_mul_f32 v[182:183], v[40:41], v[182:183]              // 000000006F60: D3B140B6 18036D28
	v_cvt_f32_i32_e32 v188, v188                               // 000000006F68: 7F780BBC
	v_cvt_f32_i32_e32 v189, v189                               // 000000006F6C: 7F7A0BBD
	v_cvt_f32_i32_e32 v190, v190                               // 000000006F70: 7F7C0BBE
	v_cvt_f32_i32_e32 v191, v191                               // 000000006F74: 7F7E0BBF
	v_pk_mul_f32 v[188:189], v[38:39], v[188:189]              // 000000006F78: D3B140BC 18037926
	v_pk_mul_f32 v[190:191], v[38:39], v[190:191]              // 000000006F80: D3B140BE 18037D26
	v_mul_f32_dpp v188, v11, v188 row_newbcast:12 row_mask:0xf bank_mask:0xf// 000000006F88: 0B7978FA FF015C0B
	v_mul_f32_dpp v189, v11, v189 row_newbcast:13 row_mask:0xf bank_mask:0xf// 000000006F90: 0B7B7AFA FF015D0B
	v_mul_f32_dpp v190, v11, v190 row_newbcast:14 row_mask:0xf bank_mask:0xf// 000000006F98: 0B7D7CFA FF015E0B
	v_mul_f32_dpp v191, v11, v191 row_newbcast:15 row_mask:0xf bank_mask:0xf// 000000006FA0: 0B7F7EFA FF015F0B
	v_pk_mul_f32 v[188:189], v[40:41], v[188:189]              // 000000006FA8: D3B140BC 18037928
	v_pk_mul_f32 v[190:191], v[40:41], v[190:191]              // 000000006FB0: D3B140BE 18037D28
	v_cvt_pkrtz_f16_f32 v160, v160, v161                       // 000000006FB8: D29600A0 000343A0
	v_cvt_pkrtz_f16_f32 v161, v162, v163                       // 000000006FC0: D29600A1 000347A2
	v_cvt_pkrtz_f16_f32 v162, v164, v165                       // 000000006FC8: D29600A2 00034BA4
	v_cvt_pkrtz_f16_f32 v163, v166, v167                       // 000000006FD0: D29600A3 00034FA6
	v_cvt_pkrtz_f16_f32 v164, v168, v169                       // 000000006FD8: D29600A4 000353A8
	v_cvt_pkrtz_f16_f32 v165, v170, v171                       // 000000006FE0: D29600A5 000357AA
	v_cvt_pkrtz_f16_f32 v166, v172, v173                       // 000000006FE8: D29600A6 00035BAC
	v_cvt_pkrtz_f16_f32 v167, v174, v175                       // 000000006FF0: D29600A7 00035FAE
	v_cvt_pkrtz_f16_f32 v168, v176, v177                       // 000000006FF8: D29600A8 000363B0
	v_cvt_pkrtz_f16_f32 v169, v178, v179                       // 000000007000: D29600A9 000367B2
	v_cvt_pkrtz_f16_f32 v170, v180, v181                       // 000000007008: D29600AA 00036BB4
	v_cvt_pkrtz_f16_f32 v171, v182, v183                       // 000000007010: D29600AB 00036FB6
	v_cvt_pkrtz_f16_f32 v172, v184, v185                       // 000000007018: D29600AC 000373B8
	v_cvt_pkrtz_f16_f32 v173, v186, v187                       // 000000007020: D29600AD 000377BA
	v_cvt_pkrtz_f16_f32 v174, v188, v189                       // 000000007028: D29600AE 00037BBC
	v_cvt_pkrtz_f16_f32 v175, v190, v191                       // 000000007030: D29600AF 00037FBE
	s_cmp_ge_u32 s80, 0x200                                    // 000000007038: BF09FF50 00000200
	s_cselect_b32 s59, 0x200, s59                              // 000000007040: 853B3BFF 00000200
	s_setvskip s20, 0                                          // 000000007048: BF108014
	global_atomic_pk_add_f16 v80, v64, s[8:9]                  // 00000000704C: DD388000 00084050
	s_setvskip 0, 0                                            // 000000007054: BF108080
	s_setvskip s20, 0                                          // 000000007058: BF108014
	global_atomic_pk_add_f16 v80, v65, s[8:9] offset:256       // 00000000705C: DD388100 00084150
	s_setvskip 0, 0                                            // 000000007064: BF108080
	s_setvskip s20, 1                                          // 000000007068: BF108114
	global_atomic_pk_add_f16 v82, v66, s[8:9]                  // 00000000706C: DD388000 00084252
	s_setvskip 0, 0                                            // 000000007074: BF108080
	s_setvskip s20, 1                                          // 000000007078: BF108114
	global_atomic_pk_add_f16 v82, v67, s[8:9] offset:256       // 00000000707C: DD388100 00084352
	s_setvskip 0, 0                                            // 000000007084: BF108080
	s_setvskip s20, 2                                          // 000000007088: BF108214
	global_atomic_pk_add_f16 v84, v68, s[8:9]                  // 00000000708C: DD388000 00084454
	s_setvskip 0, 0                                            // 000000007094: BF108080
	s_setvskip s20, 2                                          // 000000007098: BF108214
	global_atomic_pk_add_f16 v84, v69, s[8:9] offset:256       // 00000000709C: DD388100 00084554
	s_setvskip 0, 0                                            // 0000000070A4: BF108080
	s_setvskip s20, 3                                          // 0000000070A8: BF108314
	global_atomic_pk_add_f16 v86, v70, s[8:9]                  // 0000000070AC: DD388000 00084656
	s_setvskip 0, 0                                            // 0000000070B4: BF108080
	s_setvskip s20, 3                                          // 0000000070B8: BF108314
	global_atomic_pk_add_f16 v86, v71, s[8:9] offset:256       // 0000000070BC: DD388100 00084756
	s_setvskip 0, 0                                            // 0000000070C4: BF108080
	s_setvskip s20, 4                                          // 0000000070C8: BF108414
	global_atomic_pk_add_f16 v88, v72, s[8:9]                  // 0000000070CC: DD388000 00084858
	s_setvskip 0, 0                                            // 0000000070D4: BF108080
	s_setvskip s20, 4                                          // 0000000070D8: BF108414
	global_atomic_pk_add_f16 v88, v73, s[8:9] offset:256       // 0000000070DC: DD388100 00084958
	s_setvskip 0, 0                                            // 0000000070E4: BF108080
	s_setvskip s20, 5                                          // 0000000070E8: BF108514
	global_atomic_pk_add_f16 v90, v74, s[8:9]                  // 0000000070EC: DD388000 00084A5A
	s_setvskip 0, 0                                            // 0000000070F4: BF108080
	s_setvskip s20, 5                                          // 0000000070F8: BF108514
	global_atomic_pk_add_f16 v90, v75, s[8:9] offset:256       // 0000000070FC: DD388100 00084B5A
	s_setvskip 0, 0                                            // 000000007104: BF108080
	s_setvskip s20, 6                                          // 000000007108: BF108614
	global_atomic_pk_add_f16 v92, v76, s[8:9]                  // 00000000710C: DD388000 00084C5C
	s_setvskip 0, 0                                            // 000000007114: BF108080
	s_setvskip s20, 6                                          // 000000007118: BF108614
	global_atomic_pk_add_f16 v92, v77, s[8:9] offset:256       // 00000000711C: DD388100 00084D5C
	s_setvskip 0, 0                                            // 000000007124: BF108080
	s_setvskip s20, 7                                          // 000000007128: BF108714
	global_atomic_pk_add_f16 v94, v78, s[8:9]                  // 00000000712C: DD388000 00084E5E
	s_setvskip 0, 0                                            // 000000007134: BF108080
	s_setvskip s20, 7                                          // 000000007138: BF108714
	global_atomic_pk_add_f16 v94, v79, s[8:9] offset:256       // 00000000713C: DD388100 00084F5E
	s_setvskip 0, 0                                            // 000000007144: BF108080
	s_add_u32 s8, s59, s8                                      // 000000007148: 8008083B
	s_addc_u32 s9, 0, s9                                       // 00000000714C: 82090980
	s_addk_i32 s80, 0x100                                      // 000000007150: B7500100
	s_cmp_lt_i32 s80, s81                                      // 000000007154: BF045150
	s_cbranch_scc0 label_12D0                                  // 000000007158: BF8401F9
	s_waitcnt vmcnt(13) lgkmcnt(0)                             // 00000000715C: BF8C007D
	s_barrier                                                  // 000000007160: BF8A0000
	v_mfma_i32_16x16x32_i8 v[192:195], a[64:65], v[128:129], 0 // 000000007164: D3D700C0 0A030140
	ds_read_b32 v64, v4 offset:19456                           // 00000000716C: D86C4C00 40000004
	ds_read_b32 v65, v4 offset:23808                           // 000000007174: D86C5D00 41000004
	v_mfma_i32_16x16x32_i8 v[192:195], a[66:67], v[130:131], v[192:195]// 00000000717C: D3D700C0 0F030542
	buffer_load_dwordx4 a[0:3], v42, s[12:15], 0 offen         // 000000007184: E05C1000 8083002A
	v_mfma_i32_16x16x32_i8 v[196:199], a[64:65], v[144:145], 0 // 00000000718C: D3D700C4 0A032140
	ds_read_b32 v66, v4 offset:19488                           // 000000007194: D86C4C20 42000004
	ds_read_b32 v67, v4 offset:23840                           // 00000000719C: D86C5D20 43000004
	v_mfma_i32_16x16x32_i8 v[196:199], a[66:67], v[146:147], v[196:199]// 0000000071A4: D3D700C4 0F132542
	v_mfma_i32_16x16x32_i8 v[200:203], a[68:69], v[128:129], 0 // 0000000071AC: D3D700C8 0A030144
	ds_read_b32 v68, v4 offset:19520                           // 0000000071B4: D86C4C40 44000004
	ds_read_b32 v69, v4 offset:23872                           // 0000000071BC: D86C5D40 45000004
	v_mfma_i32_16x16x32_i8 v[200:203], a[70:71], v[130:131], v[200:203]// 0000000071C4: D3D700C8 0F230546
	buffer_load_dwordx4 a[4:7], v43, s[12:15], 0 offen         // 0000000071CC: E05C1000 8083042B
	v_mfma_i32_16x16x32_i8 v[204:207], a[68:69], v[144:145], 0 // 0000000071D4: D3D700CC 0A032144
	ds_read_b32 v70, v4 offset:19552                           // 0000000071DC: D86C4C60 46000004
	ds_read_b32 v71, v4 offset:23904                           // 0000000071E4: D86C5D60 47000004
	v_mfma_i32_16x16x32_i8 v[204:207], a[70:71], v[146:147], v[204:207]// 0000000071EC: D3D700CC 0F332546
	v_mfma_i32_16x16x32_i8 v[208:211], a[72:73], v[128:129], 0 // 0000000071F4: D3D700D0 0A030148
	ds_read_b32 v72, v4 offset:28160                           // 0000000071FC: D86C6E00 48000004
	ds_read_b32 v73, v4 offset:32512                           // 000000007204: D86C7F00 49000004
	v_mfma_i32_16x16x32_i8 v[208:211], a[74:75], v[130:131], v[208:211]// 00000000720C: D3D700D0 0F43054A
	buffer_load_dwordx4 a[8:11], v44, s[12:15], 0 offen        // 000000007214: E05C1000 8083082C
	v_mfma_i32_16x16x32_i8 v[212:215], a[72:73], v[144:145], 0 // 00000000721C: D3D700D4 0A032148
	ds_read_b32 v74, v4 offset:28192                           // 000000007224: D86C6E20 4A000004
	ds_read_b32 v75, v4 offset:32544                           // 00000000722C: D86C7F20 4B000004
	v_mfma_i32_16x16x32_i8 v[212:215], a[74:75], v[146:147], v[212:215]// 000000007234: D3D700D4 0F53254A
	v_mfma_i32_16x16x32_i8 v[216:219], a[76:77], v[128:129], 0 // 00000000723C: D3D700D8 0A03014C
	ds_read_b32 v76, v4 offset:28224                           // 000000007244: D86C6E40 4C000004
	ds_read_b32 v77, v4 offset:32576                           // 00000000724C: D86C7F40 4D000004
	v_mfma_i32_16x16x32_i8 v[216:219], a[78:79], v[130:131], v[216:219]// 000000007254: D3D700D8 0F63054E
	buffer_load_dwordx4 a[12:15], v45, s[12:15], 0 offen       // 00000000725C: E05C1000 80830C2D
	s_add_u32 s12, s78, s12                                    // 000000007264: 800C0C4E
	s_addc_u32 s13, 0, s13                                     // 000000007268: 820D0D80
	v_mfma_i32_16x16x32_i8 v[220:223], a[76:77], v[144:145], 0 // 00000000726C: D3D700DC 0A03214C
	ds_read_b32 v78, v4 offset:28256                           // 000000007274: D86C6E60 4E000004
	ds_read_b32 v79, v4 offset:32608                           // 00000000727C: D86C7F60 4F000004
	v_mfma_i32_16x16x32_i8 v[220:223], a[78:79], v[146:147], v[220:223]// 000000007284: D3D700DC 0F73254E
	s_waitcnt vmcnt(13)                                        // 00000000728C: BF8C0F7D
	v_mfma_i32_16x16x32_i8 v[192:195], a[80:81], v[132:133], v[192:195]// 000000007290: D3D700C0 0F030950
	v_mfma_i32_16x16x32_i8 v[192:195], a[82:83], v[134:135], v[192:195]// 000000007298: D3D700C0 0F030D52
	buffer_load_dwordx4 a[16:19], v42, s[12:15], 0 offen       // 0000000072A0: E05C1000 8083102A
	v_mfma_i32_16x16x32_i8 v[196:199], a[80:81], v[148:149], v[196:199]// 0000000072A8: D3D700C4 0F132950
	v_mfma_i32_16x16x32_i8 v[196:199], a[82:83], v[150:151], v[196:199]// 0000000072B0: D3D700C4 0F132D52
	v_mfma_i32_16x16x32_i8 v[200:203], a[84:85], v[132:133], v[200:203]// 0000000072B8: D3D700C8 0F230954
	v_mfma_i32_16x16x32_i8 v[200:203], a[86:87], v[134:135], v[200:203]// 0000000072C0: D3D700C8 0F230D56
	buffer_load_dwordx4 a[20:23], v43, s[12:15], 0 offen       // 0000000072C8: E05C1000 8083142B
	v_mfma_i32_16x16x32_i8 v[204:207], a[84:85], v[148:149], v[204:207]// 0000000072D0: D3D700CC 0F332954
	v_mfma_i32_16x16x32_i8 v[204:207], a[86:87], v[150:151], v[204:207]// 0000000072D8: D3D700CC 0F332D56
	v_mfma_i32_16x16x32_i8 v[208:211], a[88:89], v[132:133], v[208:211]// 0000000072E0: D3D700D0 0F430958
	v_mfma_i32_16x16x32_i8 v[208:211], a[90:91], v[134:135], v[208:211]// 0000000072E8: D3D700D0 0F430D5A
	buffer_load_dwordx4 a[24:27], v44, s[12:15], 0 offen       // 0000000072F0: E05C1000 8083182C
	v_mfma_i32_16x16x32_i8 v[212:215], a[88:89], v[148:149], v[212:215]// 0000000072F8: D3D700D4 0F532958
	v_mfma_i32_16x16x32_i8 v[212:215], a[90:91], v[150:151], v[212:215]// 000000007300: D3D700D4 0F532D5A
	v_mfma_i32_16x16x32_i8 v[216:219], a[92:93], v[132:133], v[216:219]// 000000007308: D3D700D8 0F63095C
	v_mfma_i32_16x16x32_i8 v[216:219], a[94:95], v[134:135], v[216:219]// 000000007310: D3D700D8 0F630D5E
	buffer_load_dwordx4 a[28:31], v45, s[12:15], 0 offen       // 000000007318: E05C1000 80831C2D
	s_add_u32 s12, s78, s12                                    // 000000007320: 800C0C4E
	s_addc_u32 s13, 0, s13                                     // 000000007324: 820D0D80
	v_mfma_i32_16x16x32_i8 v[220:223], a[92:93], v[148:149], v[220:223]// 000000007328: D3D700DC 0F73295C
	v_mfma_i32_16x16x32_i8 v[220:223], a[94:95], v[150:151], v[220:223]// 000000007330: D3D700DC 0F732D5E
	s_waitcnt vmcnt(13)                                        // 000000007338: BF8C0F7D
	v_mfma_i32_16x16x32_i8 v[192:195], a[96:97], v[136:137], v[192:195]// 00000000733C: D3D700C0 0F031160
	ds_write_b64 v3, v[160:161] offset:2048                    // 000000007344: D89A0800 0000A003
	v_mfma_i32_16x16x32_i8 v[192:195], a[98:99], v[138:139], v[192:195]// 00000000734C: D3D700C0 0F031562
	buffer_load_dwordx4 a[32:35], v42, s[12:15], 0 offen       // 000000007354: E05C1000 8083202A
	v_mfma_i32_16x16x32_i8 v[196:199], a[96:97], v[152:153], v[196:199]// 00000000735C: D3D700C4 0F133160
	ds_write_b64 v3, v[162:163] offset:10752                   // 000000007364: D89A2A00 0000A203
	v_mfma_i32_16x16x32_i8 v[196:199], a[98:99], v[154:155], v[196:199]// 00000000736C: D3D700C4 0F133562
	v_mfma_i32_16x16x32_i8 v[200:203], a[100:101], v[136:137], v[200:203]// 000000007374: D3D700C8 0F231164
	ds_write_b64 v3, v[164:165] offset:4224                    // 00000000737C: D89A1080 0000A403
	v_mfma_i32_16x16x32_i8 v[200:203], a[102:103], v[138:139], v[200:203]// 000000007384: D3D700C8 0F231566
	buffer_load_dwordx4 a[36:39], v43, s[12:15], 0 offen       // 00000000738C: E05C1000 8083242B
	v_mfma_i32_16x16x32_i8 v[204:207], a[100:101], v[152:153], v[204:207]// 000000007394: D3D700CC 0F333164
	ds_write_b64 v3, v[166:167] offset:12928                   // 00000000739C: D89A3280 0000A603
	v_mfma_i32_16x16x32_i8 v[204:207], a[102:103], v[154:155], v[204:207]// 0000000073A4: D3D700CC 0F333566
	v_mfma_i32_16x16x32_i8 v[208:211], a[104:105], v[136:137], v[208:211]// 0000000073AC: D3D700D0 0F431168
	ds_write_b64 v3, v[168:169] offset:6400                    // 0000000073B4: D89A1900 0000A803
	v_mfma_i32_16x16x32_i8 v[208:211], a[106:107], v[138:139], v[208:211]// 0000000073BC: D3D700D0 0F43156A
	buffer_load_dwordx4 a[40:43], v44, s[12:15], 0 offen       // 0000000073C4: E05C1000 8083282C
	v_mfma_i32_16x16x32_i8 v[212:215], a[104:105], v[152:153], v[212:215]// 0000000073CC: D3D700D4 0F533168
	ds_write_b64 v3, v[170:171] offset:15104                   // 0000000073D4: D89A3B00 0000AA03
	v_mfma_i32_16x16x32_i8 v[212:215], a[106:107], v[154:155], v[212:215]// 0000000073DC: D3D700D4 0F53356A
	v_mfma_i32_16x16x32_i8 v[216:219], a[108:109], v[136:137], v[216:219]// 0000000073E4: D3D700D8 0F63116C
	ds_write_b64 v3, v[172:173] offset:8576                    // 0000000073EC: D89A2180 0000AC03
	v_mfma_i32_16x16x32_i8 v[216:219], a[110:111], v[138:139], v[216:219]// 0000000073F4: D3D700D8 0F63156E
	buffer_load_dwordx4 a[44:47], v45, s[12:15], 0 offen       // 0000000073FC: E05C1000 80832C2D
	s_add_u32 s12, s78, s12                                    // 000000007404: 800C0C4E
	s_addc_u32 s13, 0, s13                                     // 000000007408: 820D0D80
	v_mfma_i32_16x16x32_i8 v[220:223], a[108:109], v[152:153], v[220:223]// 00000000740C: D3D700DC 0F73316C
	ds_write_b64 v3, v[174:175] offset:17280                   // 000000007414: D89A4380 0000AE03
	v_mfma_i32_16x16x32_i8 v[220:223], a[110:111], v[154:155], v[220:223]// 00000000741C: D3D700DC 0F73356E
	s_waitcnt vmcnt(12)                                        // 000000007424: BF8C0F7C
	v_mfma_i32_16x16x32_i8 v[192:195], a[112:113], v[140:141], v[192:195]// 000000007428: D3D700C0 0F031970
	v_mfma_i32_16x16x32_i8 v[192:195], a[114:115], v[142:143], v[192:195]// 000000007430: D3D700C0 0F031D72
	buffer_load_dwordx4 a[48:51], v42, s[12:15], 0 offen       // 000000007438: E05C1000 8083302A
	v_mfma_i32_16x16x32_i8 v[196:199], a[112:113], v[156:157], v[196:199]// 000000007440: D3D700C4 0F133970
	v_mfma_i32_16x16x32_i8 v[196:199], a[114:115], v[158:159], v[196:199]// 000000007448: D3D700C4 0F133D72
	buffer_load_dword v11, v5, s[16:19], 0 offen               // 000000007450: E0501000 80040B05
	v_mfma_i32_16x16x32_i8 v[200:203], a[116:117], v[140:141], v[200:203]// 000000007458: D3D700C8 0F231974
	v_mfma_i32_16x16x32_i8 v[200:203], a[118:119], v[142:143], v[200:203]// 000000007460: D3D700C8 0F231D76
	buffer_load_dwordx4 a[52:55], v43, s[12:15], 0 offen       // 000000007468: E05C1000 8083342B
	v_mfma_i32_16x16x32_i8 v[204:207], a[116:117], v[156:157], v[204:207]// 000000007470: D3D700CC 0F333974
	v_mfma_i32_16x16x32_i8 v[204:207], a[118:119], v[158:159], v[204:207]// 000000007478: D3D700CC 0F333D76
	v_mfma_i32_16x16x32_i8 v[208:211], a[120:121], v[140:141], v[208:211]// 000000007480: D3D700D0 0F431978
	v_mfma_i32_16x16x32_i8 v[208:211], a[122:123], v[142:143], v[208:211]// 000000007488: D3D700D0 0F431D7A
	buffer_load_dwordx4 a[56:59], v44, s[12:15], 0 offen       // 000000007490: E05C1000 8083382C
	v_mfma_i32_16x16x32_i8 v[212:215], a[120:121], v[156:157], v[212:215]// 000000007498: D3D700D4 0F533978
	v_mfma_i32_16x16x32_i8 v[212:215], a[122:123], v[158:159], v[212:215]// 0000000074A0: D3D700D4 0F533D7A
	v_mfma_i32_16x16x32_i8 v[216:219], a[124:125], v[140:141], v[216:219]// 0000000074A8: D3D700D8 0F63197C
	v_mfma_i32_16x16x32_i8 v[216:219], a[126:127], v[142:143], v[216:219]// 0000000074B0: D3D700D8 0F631D7E
	buffer_load_dwordx4 a[60:63], v45, s[12:15], 0 offen       // 0000000074B8: E05C1000 80833C2D
	v_mfma_i32_16x16x32_i8 v[220:223], a[124:125], v[156:157], v[220:223]// 0000000074C0: D3D700DC 0F73397C
	v_mfma_i32_16x16x32_i8 v[220:223], a[126:127], v[158:159], v[220:223]// 0000000074C8: D3D700DC 0F733D7E
	s_add_u32 s60, 0x200, s80                                  // 0000000074D0: 803C50FF 00000200
	s_cmp_lt_u32 s60, s81                                      // 0000000074D8: BF0A513C
	s_cselect_b32 s56, s56, 0                                  // 0000000074DC: 85388038
	s_cselect_b32 s78, s78, 0                                  // 0000000074E0: 854E804E
	s_cselect_b32 s79, s79, 0                                  // 0000000074E4: 854F804F
	s_add_u32 s12, s56, s12                                    // 0000000074E8: 800C0C38
	s_addc_u32 s13, 0, s13                                     // 0000000074EC: 820D0D80
	s_add_u32 s16, s79, s16                                    // 0000000074F0: 8010104F
	s_addc_u32 s17, 0, s17                                     // 0000000074F4: 82111180
	v_mov_b32_e32 v38, v22                                     // 0000000074F8: 7E4C0316
	v_mov_b32_e32 v40, v17                                     // 0000000074FC: 7E500311
	v_mov_b32_e32 v39, v38                                     // 000000007500: 7E4E0326
	v_mov_b32_e32 v41, v40                                     // 000000007504: 7E520328
	v_cvt_f32_i32_e32 v192, v192                               // 000000007508: 7F800BC0
	v_cvt_f32_i32_e32 v193, v193                               // 00000000750C: 7F820BC1
	v_cvt_f32_i32_e32 v194, v194                               // 000000007510: 7F840BC2
	v_cvt_f32_i32_e32 v195, v195                               // 000000007514: 7F860BC3
	v_pk_mul_f32 v[192:193], v[38:39], v[192:193]              // 000000007518: D3B140C0 18038126
	v_pk_mul_f32 v[194:195], v[38:39], v[194:195]              // 000000007520: D3B140C2 18038526
	v_mul_f32_dpp v192, v12, v192 row_newbcast:0 row_mask:0xf bank_mask:0xf// 000000007528: 0B8180FA FF01500C
	v_mul_f32_dpp v193, v12, v193 row_newbcast:1 row_mask:0xf bank_mask:0xf// 000000007530: 0B8382FA FF01510C
	v_mul_f32_dpp v194, v12, v194 row_newbcast:2 row_mask:0xf bank_mask:0xf// 000000007538: 0B8584FA FF01520C
	v_mul_f32_dpp v195, v12, v195 row_newbcast:3 row_mask:0xf bank_mask:0xf// 000000007540: 0B8786FA FF01530C
	v_pk_mul_f32 v[192:193], v[40:41], v[192:193]              // 000000007548: D3B140C0 18038128
	v_pk_mul_f32 v[194:195], v[40:41], v[194:195]              // 000000007550: D3B140C2 18038528
	v_cvt_f32_i32_e32 v200, v200                               // 000000007558: 7F900BC8
	v_cvt_f32_i32_e32 v201, v201                               // 00000000755C: 7F920BC9
	v_cvt_f32_i32_e32 v202, v202                               // 000000007560: 7F940BCA
	v_cvt_f32_i32_e32 v203, v203                               // 000000007564: 7F960BCB
	v_pk_mul_f32 v[200:201], v[38:39], v[200:201]              // 000000007568: D3B140C8 18039126
	v_pk_mul_f32 v[202:203], v[38:39], v[202:203]              // 000000007570: D3B140CA 18039526
	v_mul_f32_dpp v200, v12, v200 row_newbcast:4 row_mask:0xf bank_mask:0xf// 000000007578: 0B9190FA FF01540C
	v_mul_f32_dpp v201, v12, v201 row_newbcast:5 row_mask:0xf bank_mask:0xf// 000000007580: 0B9392FA FF01550C
	v_mul_f32_dpp v202, v12, v202 row_newbcast:6 row_mask:0xf bank_mask:0xf// 000000007588: 0B9594FA FF01560C
	v_mul_f32_dpp v203, v12, v203 row_newbcast:7 row_mask:0xf bank_mask:0xf// 000000007590: 0B9796FA FF01570C
	v_pk_mul_f32 v[200:201], v[40:41], v[200:201]              // 000000007598: D3B140C8 18039128
	v_pk_mul_f32 v[202:203], v[40:41], v[202:203]              // 0000000075A0: D3B140CA 18039528
	v_cvt_f32_i32_e32 v208, v208                               // 0000000075A8: 7FA00BD0
	v_cvt_f32_i32_e32 v209, v209                               // 0000000075AC: 7FA20BD1
	v_cvt_f32_i32_e32 v210, v210                               // 0000000075B0: 7FA40BD2
	v_cvt_f32_i32_e32 v211, v211                               // 0000000075B4: 7FA60BD3
	v_pk_mul_f32 v[208:209], v[38:39], v[208:209]              // 0000000075B8: D3B140D0 1803A126
	v_pk_mul_f32 v[210:211], v[38:39], v[210:211]              // 0000000075C0: D3B140D2 1803A526
	v_mul_f32_dpp v208, v12, v208 row_newbcast:8 row_mask:0xf bank_mask:0xf// 0000000075C8: 0BA1A0FA FF01580C
	v_mul_f32_dpp v209, v12, v209 row_newbcast:9 row_mask:0xf bank_mask:0xf// 0000000075D0: 0BA3A2FA FF01590C
	v_mul_f32_dpp v210, v12, v210 row_newbcast:10 row_mask:0xf bank_mask:0xf// 0000000075D8: 0BA5A4FA FF015A0C
	v_mul_f32_dpp v211, v12, v211 row_newbcast:11 row_mask:0xf bank_mask:0xf// 0000000075E0: 0BA7A6FA FF015B0C
	v_pk_mul_f32 v[208:209], v[40:41], v[208:209]              // 0000000075E8: D3B140D0 1803A128
	v_pk_mul_f32 v[210:211], v[40:41], v[210:211]              // 0000000075F0: D3B140D2 1803A528
	v_cvt_f32_i32_e32 v216, v216                               // 0000000075F8: 7FB00BD8
	v_cvt_f32_i32_e32 v217, v217                               // 0000000075FC: 7FB20BD9
	v_cvt_f32_i32_e32 v218, v218                               // 000000007600: 7FB40BDA
	v_cvt_f32_i32_e32 v219, v219                               // 000000007604: 7FB60BDB
	v_pk_mul_f32 v[216:217], v[38:39], v[216:217]              // 000000007608: D3B140D8 1803B126
	v_pk_mul_f32 v[218:219], v[38:39], v[218:219]              // 000000007610: D3B140DA 1803B526
	v_mul_f32_dpp v216, v12, v216 row_newbcast:12 row_mask:0xf bank_mask:0xf// 000000007618: 0BB1B0FA FF015C0C
	v_mul_f32_dpp v217, v12, v217 row_newbcast:13 row_mask:0xf bank_mask:0xf// 000000007620: 0BB3B2FA FF015D0C
	v_mul_f32_dpp v218, v12, v218 row_newbcast:14 row_mask:0xf bank_mask:0xf// 000000007628: 0BB5B4FA FF015E0C
	v_mul_f32_dpp v219, v12, v219 row_newbcast:15 row_mask:0xf bank_mask:0xf// 000000007630: 0BB7B6FA FF015F0C
	v_pk_mul_f32 v[216:217], v[40:41], v[216:217]              // 000000007638: D3B140D8 1803B128
	v_pk_mul_f32 v[218:219], v[40:41], v[218:219]              // 000000007640: D3B140DA 1803B528
	v_mov_b32_e32 v38, v23                                     // 000000007648: 7E4C0317
	v_mov_b32_e32 v40, v18                                     // 00000000764C: 7E500312
	v_mov_b32_e32 v39, v38                                     // 000000007650: 7E4E0326
	v_mov_b32_e32 v41, v40                                     // 000000007654: 7E520328
	v_cvt_f32_i32_e32 v196, v196                               // 000000007658: 7F880BC4
	v_cvt_f32_i32_e32 v197, v197                               // 00000000765C: 7F8A0BC5
	v_cvt_f32_i32_e32 v198, v198                               // 000000007660: 7F8C0BC6
	v_cvt_f32_i32_e32 v199, v199                               // 000000007664: 7F8E0BC7
	v_pk_mul_f32 v[196:197], v[38:39], v[196:197]              // 000000007668: D3B140C4 18038926
	v_pk_mul_f32 v[198:199], v[38:39], v[198:199]              // 000000007670: D3B140C6 18038D26
	v_mul_f32_dpp v196, v12, v196 row_newbcast:0 row_mask:0xf bank_mask:0xf// 000000007678: 0B8988FA FF01500C
	v_mul_f32_dpp v197, v12, v197 row_newbcast:1 row_mask:0xf bank_mask:0xf// 000000007680: 0B8B8AFA FF01510C
	v_mul_f32_dpp v198, v12, v198 row_newbcast:2 row_mask:0xf bank_mask:0xf// 000000007688: 0B8D8CFA FF01520C
	v_mul_f32_dpp v199, v12, v199 row_newbcast:3 row_mask:0xf bank_mask:0xf// 000000007690: 0B8F8EFA FF01530C
	v_pk_mul_f32 v[196:197], v[40:41], v[196:197]              // 000000007698: D3B140C4 18038928
	v_pk_mul_f32 v[198:199], v[40:41], v[198:199]              // 0000000076A0: D3B140C6 18038D28
	v_cvt_f32_i32_e32 v204, v204                               // 0000000076A8: 7F980BCC
	v_cvt_f32_i32_e32 v205, v205                               // 0000000076AC: 7F9A0BCD
	v_cvt_f32_i32_e32 v206, v206                               // 0000000076B0: 7F9C0BCE
	v_cvt_f32_i32_e32 v207, v207                               // 0000000076B4: 7F9E0BCF
	v_pk_mul_f32 v[204:205], v[38:39], v[204:205]              // 0000000076B8: D3B140CC 18039926
	v_pk_mul_f32 v[206:207], v[38:39], v[206:207]              // 0000000076C0: D3B140CE 18039D26
	v_mul_f32_dpp v204, v12, v204 row_newbcast:4 row_mask:0xf bank_mask:0xf// 0000000076C8: 0B9998FA FF01540C
	v_mul_f32_dpp v205, v12, v205 row_newbcast:5 row_mask:0xf bank_mask:0xf// 0000000076D0: 0B9B9AFA FF01550C
	v_mul_f32_dpp v206, v12, v206 row_newbcast:6 row_mask:0xf bank_mask:0xf// 0000000076D8: 0B9D9CFA FF01560C
	v_mul_f32_dpp v207, v12, v207 row_newbcast:7 row_mask:0xf bank_mask:0xf// 0000000076E0: 0B9F9EFA FF01570C
	v_pk_mul_f32 v[204:205], v[40:41], v[204:205]              // 0000000076E8: D3B140CC 18039928
	v_pk_mul_f32 v[206:207], v[40:41], v[206:207]              // 0000000076F0: D3B140CE 18039D28
	v_cvt_f32_i32_e32 v212, v212                               // 0000000076F8: 7FA80BD4
	v_cvt_f32_i32_e32 v213, v213                               // 0000000076FC: 7FAA0BD5
	v_cvt_f32_i32_e32 v214, v214                               // 000000007700: 7FAC0BD6
	v_cvt_f32_i32_e32 v215, v215                               // 000000007704: 7FAE0BD7
	v_pk_mul_f32 v[212:213], v[38:39], v[212:213]              // 000000007708: D3B140D4 1803A926
	v_pk_mul_f32 v[214:215], v[38:39], v[214:215]              // 000000007710: D3B140D6 1803AD26
	v_mul_f32_dpp v212, v12, v212 row_newbcast:8 row_mask:0xf bank_mask:0xf// 000000007718: 0BA9A8FA FF01580C
	v_mul_f32_dpp v213, v12, v213 row_newbcast:9 row_mask:0xf bank_mask:0xf// 000000007720: 0BABAAFA FF01590C
	v_mul_f32_dpp v214, v12, v214 row_newbcast:10 row_mask:0xf bank_mask:0xf// 000000007728: 0BADACFA FF015A0C
	v_mul_f32_dpp v215, v12, v215 row_newbcast:11 row_mask:0xf bank_mask:0xf// 000000007730: 0BAFAEFA FF015B0C
	v_pk_mul_f32 v[212:213], v[40:41], v[212:213]              // 000000007738: D3B140D4 1803A928
	v_pk_mul_f32 v[214:215], v[40:41], v[214:215]              // 000000007740: D3B140D6 1803AD28
	v_cvt_f32_i32_e32 v220, v220                               // 000000007748: 7FB80BDC
	v_cvt_f32_i32_e32 v221, v221                               // 00000000774C: 7FBA0BDD
	v_cvt_f32_i32_e32 v222, v222                               // 000000007750: 7FBC0BDE
	v_cvt_f32_i32_e32 v223, v223                               // 000000007754: 7FBE0BDF
	v_pk_mul_f32 v[220:221], v[38:39], v[220:221]              // 000000007758: D3B140DC 1803B926
	v_pk_mul_f32 v[222:223], v[38:39], v[222:223]              // 000000007760: D3B140DE 1803BD26
	v_mul_f32_dpp v220, v12, v220 row_newbcast:12 row_mask:0xf bank_mask:0xf// 000000007768: 0BB9B8FA FF015C0C
	v_mul_f32_dpp v221, v12, v221 row_newbcast:13 row_mask:0xf bank_mask:0xf// 000000007770: 0BBBBAFA FF015D0C
	v_mul_f32_dpp v222, v12, v222 row_newbcast:14 row_mask:0xf bank_mask:0xf// 000000007778: 0BBDBCFA FF015E0C
	v_mul_f32_dpp v223, v12, v223 row_newbcast:15 row_mask:0xf bank_mask:0xf// 000000007780: 0BBFBEFA FF015F0C
	v_pk_mul_f32 v[220:221], v[40:41], v[220:221]              // 000000007788: D3B140DC 1803B928
	v_pk_mul_f32 v[222:223], v[40:41], v[222:223]              // 000000007790: D3B140DE 1803BD28
	v_cvt_pkrtz_f16_f32 v192, v192, v193                       // 000000007798: D29600C0 000383C0
	v_cvt_pkrtz_f16_f32 v193, v194, v195                       // 0000000077A0: D29600C1 000387C2
	v_cvt_pkrtz_f16_f32 v194, v196, v197                       // 0000000077A8: D29600C2 00038BC4
	v_cvt_pkrtz_f16_f32 v195, v198, v199                       // 0000000077B0: D29600C3 00038FC6
	v_cvt_pkrtz_f16_f32 v196, v200, v201                       // 0000000077B8: D29600C4 000393C8
	v_cvt_pkrtz_f16_f32 v197, v202, v203                       // 0000000077C0: D29600C5 000397CA
	v_cvt_pkrtz_f16_f32 v198, v204, v205                       // 0000000077C8: D29600C6 00039BCC
	v_cvt_pkrtz_f16_f32 v199, v206, v207                       // 0000000077D0: D29600C7 00039FCE
	v_cvt_pkrtz_f16_f32 v200, v208, v209                       // 0000000077D8: D29600C8 0003A3D0
	v_cvt_pkrtz_f16_f32 v201, v210, v211                       // 0000000077E0: D29600C9 0003A7D2
	v_cvt_pkrtz_f16_f32 v202, v212, v213                       // 0000000077E8: D29600CA 0003ABD4
	v_cvt_pkrtz_f16_f32 v203, v214, v215                       // 0000000077F0: D29600CB 0003AFD6
	v_cvt_pkrtz_f16_f32 v204, v216, v217                       // 0000000077F8: D29600CC 0003B3D8
	v_cvt_pkrtz_f16_f32 v205, v218, v219                       // 000000007800: D29600CD 0003B7DA
	v_cvt_pkrtz_f16_f32 v206, v220, v221                       // 000000007808: D29600CE 0003BBDC
	v_cvt_pkrtz_f16_f32 v207, v222, v223                       // 000000007810: D29600CF 0003BFDE
	s_cmp_ge_u32 s80, 0x200                                    // 000000007818: BF09FF50 00000200
	s_cselect_b32 s59, 0x200, s59                              // 000000007820: 853B3BFF 00000200
	s_setvskip s20, 0                                          // 000000007828: BF108014
	global_atomic_pk_add_f16 v80, v64, s[8:9]                  // 00000000782C: DD388000 00084050
	s_setvskip 0, 0                                            // 000000007834: BF108080
	s_setvskip s20, 0                                          // 000000007838: BF108014
	global_atomic_pk_add_f16 v80, v65, s[8:9] offset:256       // 00000000783C: DD388100 00084150
	s_setvskip 0, 0                                            // 000000007844: BF108080
	s_setvskip s20, 1                                          // 000000007848: BF108114
	global_atomic_pk_add_f16 v82, v66, s[8:9]                  // 00000000784C: DD388000 00084252
	s_setvskip 0, 0                                            // 000000007854: BF108080
	s_setvskip s20, 1                                          // 000000007858: BF108114
	global_atomic_pk_add_f16 v82, v67, s[8:9] offset:256       // 00000000785C: DD388100 00084352
	s_setvskip 0, 0                                            // 000000007864: BF108080
	s_setvskip s20, 2                                          // 000000007868: BF108214
	global_atomic_pk_add_f16 v84, v68, s[8:9]                  // 00000000786C: DD388000 00084454
	s_setvskip 0, 0                                            // 000000007874: BF108080
	s_setvskip s20, 2                                          // 000000007878: BF108214
	global_atomic_pk_add_f16 v84, v69, s[8:9] offset:256       // 00000000787C: DD388100 00084554
	s_setvskip 0, 0                                            // 000000007884: BF108080
	s_setvskip s20, 3                                          // 000000007888: BF108314
	global_atomic_pk_add_f16 v86, v70, s[8:9]                  // 00000000788C: DD388000 00084656
	s_setvskip 0, 0                                            // 000000007894: BF108080
	s_setvskip s20, 3                                          // 000000007898: BF108314
	global_atomic_pk_add_f16 v86, v71, s[8:9] offset:256       // 00000000789C: DD388100 00084756
	s_setvskip 0, 0                                            // 0000000078A4: BF108080
	s_setvskip s20, 4                                          // 0000000078A8: BF108414
	global_atomic_pk_add_f16 v88, v72, s[8:9]                  // 0000000078AC: DD388000 00084858
	s_setvskip 0, 0                                            // 0000000078B4: BF108080
	s_setvskip s20, 4                                          // 0000000078B8: BF108414
	global_atomic_pk_add_f16 v88, v73, s[8:9] offset:256       // 0000000078BC: DD388100 00084958
	s_setvskip 0, 0                                            // 0000000078C4: BF108080
	s_setvskip s20, 5                                          // 0000000078C8: BF108514
	global_atomic_pk_add_f16 v90, v74, s[8:9]                  // 0000000078CC: DD388000 00084A5A
	s_setvskip 0, 0                                            // 0000000078D4: BF108080
	s_setvskip s20, 5                                          // 0000000078D8: BF108514
	global_atomic_pk_add_f16 v90, v75, s[8:9] offset:256       // 0000000078DC: DD388100 00084B5A
	s_setvskip 0, 0                                            // 0000000078E4: BF108080
	s_setvskip s20, 6                                          // 0000000078E8: BF108614
	global_atomic_pk_add_f16 v92, v76, s[8:9]                  // 0000000078EC: DD388000 00084C5C
	s_setvskip 0, 0                                            // 0000000078F4: BF108080
	s_setvskip s20, 6                                          // 0000000078F8: BF108614
	global_atomic_pk_add_f16 v92, v77, s[8:9] offset:256       // 0000000078FC: DD388100 00084D5C
	s_setvskip 0, 0                                            // 000000007904: BF108080
	s_setvskip s20, 7                                          // 000000007908: BF108714
	global_atomic_pk_add_f16 v94, v78, s[8:9]                  // 00000000790C: DD388000 00084E5E
	s_setvskip 0, 0                                            // 000000007914: BF108080
	s_setvskip s20, 7                                          // 000000007918: BF108714
	global_atomic_pk_add_f16 v94, v79, s[8:9] offset:256       // 00000000791C: DD388100 00084F5E
	s_setvskip 0, 0                                            // 000000007924: BF108080
	s_add_u32 s8, s59, s8                                      // 000000007928: 8008083B
	s_addc_u32 s9, 0, s9                                       // 00000000792C: 82090980
	s_addk_i32 s80, 0x100                                      // 000000007930: B7500100
	s_cmp_lt_i32 s80, s81                                      // 000000007934: BF045150
	s_cbranch_scc0 label_12D0                                  // 000000007938: BF840001
	s_branch label_0EDF                                        // 00000000793C: BF82FC0F

0000000000007940 <label_12D0>:
	s_nop 0                                                    // 000000007940: BF800000
	s_nop 0                                                    // 000000007944: BF800000
	s_branch label_21D1                                        // 000000007948: BF820EFE

000000000000794c <label_12D3>:
	v_mov_b32_e32 v232, v22                                    // 00000000794C: 7FD00316
	v_mov_b32_e32 v234, v23                                    // 000000007950: 7FD40317
	v_mov_b32_e32 v233, v232                                   // 000000007954: 7FD203E8
	v_mov_b32_e32 v235, v234                                   // 000000007958: 7FD603EA
	s_waitcnt vmcnt(8) lgkmcnt(0)                              // 00000000795C: BF8C0078
	s_barrier                                                  // 000000007960: BF8A0000
	v_mfma_i32_16x16x32_i8 v[224:227], a[0:1], v[160:161], 0   // 000000007964: D3D700E0 0A034100
	buffer_load_dwordx4 a[64:67], v34, s[92:95], 0 offen       // 00000000796C: E05C1000 80974022
	v_mfma_i32_16x16x32_i8 v[224:227], a[2:3], v[162:163], v[224:227]// 000000007974: D3D700E0 0F834502
	v_mfma_i32_16x16x32_i8 v[224:227], a[4:5], v[164:165], v[224:227]// 00000000797C: D3D700E0 0F834904
	buffer_load_dword v26, s[20:23], 0 offen lds               // 000000007984: E0511000 8005001A
	buffer_load_dword v26, s[20:23], 0 offen offset:256 lds    // 00000000798C: E0511100 8005001A
	s_add_u32 m0, 0x820, s51                                   // 000000007994: 807C33FF 00000820
	v_mfma_i32_16x16x32_i8 v[224:227], a[6:7], v[166:167], v[224:227]// 00000000799C: D3D700E0 0F834D06
	v_mfma_i32_16x16x32_i8 v[224:227], a[8:9], v[168:169], v[224:227]// 0000000079A4: D3D700E0 0F835108
	buffer_load_dwordx4 a[68:71], v34, s[92:95], 0 offen offset:1024// 0000000079AC: E05C1400 80974422
	v_mfma_i32_16x16x32_i8 v[224:227], a[10:11], v[170:171], v[224:227]// 0000000079B4: D3D700E0 0F83550A
	v_mfma_i32_16x16x32_i8 v[224:227], a[12:13], v[172:173], v[224:227]// 0000000079BC: D3D700E0 0F83590C
	buffer_load_dword v27, s[20:23], 0 offen lds               // 0000000079C4: E0511000 8005001B
	buffer_load_dword v27, s[20:23], 0 offen offset:256 lds    // 0000000079CC: E0511100 8005001B
	s_add_u32 m0, 0x1040, s51                                  // 0000000079D4: 807C33FF 00001040
	v_mfma_i32_16x16x32_i8 v[224:227], a[14:15], v[174:175], v[224:227]// 0000000079DC: D3D700E0 0F835D0E
	v_mfma_i32_16x16x32_i8 v[228:231], a[0:1], v[176:177], 0   // 0000000079E4: D3D700E4 0A036100
	buffer_load_dwordx4 a[72:75], v34, s[92:95], 0 offen offset:2048// 0000000079EC: E05C1800 80974822
	v_mfma_i32_16x16x32_i8 v[228:231], a[2:3], v[178:179], v[228:231]// 0000000079F4: D3D700E4 0F936502
	v_mfma_i32_16x16x32_i8 v[228:231], a[4:5], v[180:181], v[228:231]// 0000000079FC: D3D700E4 0F936904
	buffer_load_dword v28, s[20:23], 0 offen lds               // 000000007A04: E0511000 8005001C
	buffer_load_dword v28, s[20:23], 0 offen offset:256 lds    // 000000007A0C: E0511100 8005001C
	s_add_u32 m0, 0x1860, s51                                  // 000000007A14: 807C33FF 00001860
	v_mfma_i32_16x16x32_i8 v[228:231], a[6:7], v[182:183], v[228:231]// 000000007A1C: D3D700E4 0F936D06
	v_mfma_i32_16x16x32_i8 v[228:231], a[8:9], v[184:185], v[228:231]// 000000007A24: D3D700E4 0F937108
	buffer_load_dwordx4 a[76:79], v34, s[92:95], 0 offen offset:3072// 000000007A2C: E05C1C00 80974C22
	v_mfma_i32_16x16x32_i8 v[228:231], a[10:11], v[186:187], v[228:231]// 000000007A34: D3D700E4 0F93750A
	v_mfma_i32_16x16x32_i8 v[228:231], a[12:13], v[188:189], v[228:231]// 000000007A3C: D3D700E4 0F93790C
	buffer_load_dword v29, s[20:23], 0 offen lds               // 000000007A44: E0511000 8005001D
	buffer_load_dword v29, s[20:23], 0 offen offset:256 lds    // 000000007A4C: E0511100 8005001D
	s_add_u32 m0, 0x2080, s51                                  // 000000007A54: 807C33FF 00002080
	v_mfma_i32_16x16x32_i8 v[228:231], a[14:15], v[190:191], v[228:231]// 000000007A5C: D3D700E4 0F937D0E
	v_cvt_f32_i32_e32 v224, v224                               // 000000007A64: 7FC00BE0
	v_cvt_f32_i32_e32 v225, v225                               // 000000007A68: 7FC20BE1
	v_cvt_f32_i32_e32 v226, v226                               // 000000007A6C: 7FC40BE2
	v_cvt_f32_i32_e32 v227, v227                               // 000000007A70: 7FC60BE3
	v_pk_fma_f32 v[128:129], v[224:225], v[232:233], v[128:129]// 000000007A74: D3B04080 1E03D1E0
	v_pk_fma_f32 v[130:131], v[226:227], v[232:233], v[130:131]// 000000007A7C: D3B04082 1E0BD1E2
	v_mfma_i32_16x16x32_i8 v[224:227], a[16:17], v[160:161], 0 // 000000007A84: D3D700E0 0A034110
	buffer_load_dwordx4 a[80:83], v35, s[92:95], 0 offen       // 000000007A8C: E05C1000 80975023
	v_mfma_i32_16x16x32_i8 v[224:227], a[18:19], v[162:163], v[224:227]// 000000007A94: D3D700E0 0F834512
	v_mfma_i32_16x16x32_i8 v[224:227], a[20:21], v[164:165], v[224:227]// 000000007A9C: D3D700E0 0F834914
	buffer_load_dword v30, s[20:23], 0 offen lds               // 000000007AA4: E0511000 8005001E
	buffer_load_dword v30, s[20:23], 0 offen offset:256 lds    // 000000007AAC: E0511100 8005001E
	s_add_u32 m0, 0x28a0, s51                                  // 000000007AB4: 807C33FF 000028A0
	v_mfma_i32_16x16x32_i8 v[224:227], a[22:23], v[166:167], v[224:227]// 000000007ABC: D3D700E0 0F834D16
	v_mfma_i32_16x16x32_i8 v[224:227], a[24:25], v[168:169], v[224:227]// 000000007AC4: D3D700E0 0F835118
	buffer_load_dwordx4 a[84:87], v35, s[92:95], 0 offen offset:1024// 000000007ACC: E05C1400 80975423
	v_mfma_i32_16x16x32_i8 v[224:227], a[26:27], v[170:171], v[224:227]// 000000007AD4: D3D700E0 0F83551A
	v_mfma_i32_16x16x32_i8 v[224:227], a[28:29], v[172:173], v[224:227]// 000000007ADC: D3D700E0 0F83591C
	buffer_load_dword v31, s[20:23], 0 offen lds               // 000000007AE4: E0511000 8005001F
	buffer_load_dword v31, s[20:23], 0 offen offset:256 lds    // 000000007AEC: E0511100 8005001F
	s_add_u32 m0, 0x30c0, s51                                  // 000000007AF4: 807C33FF 000030C0
	v_mfma_i32_16x16x32_i8 v[224:227], a[30:31], v[174:175], v[224:227]// 000000007AFC: D3D700E0 0F835D1E
	v_cvt_f32_i32_e32 v228, v228                               // 000000007B04: 7FC80BE4
	v_cvt_f32_i32_e32 v229, v229                               // 000000007B08: 7FCA0BE5
	v_cvt_f32_i32_e32 v230, v230                               // 000000007B0C: 7FCC0BE6
	v_cvt_f32_i32_e32 v231, v231                               // 000000007B10: 7FCE0BE7
	v_pk_fma_f32 v[132:133], v[228:229], v[234:235], v[132:133]// 000000007B14: D3B04084 1E13D5E4
	v_pk_fma_f32 v[134:135], v[230:231], v[234:235], v[134:135]// 000000007B1C: D3B04086 1E1BD5E6
	v_mfma_i32_16x16x32_i8 v[228:231], a[16:17], v[176:177], 0 // 000000007B24: D3D700E4 0A036110
	buffer_load_dwordx4 a[88:91], v35, s[92:95], 0 offen offset:2048// 000000007B2C: E05C1800 80975823
	v_mfma_i32_16x16x32_i8 v[228:231], a[18:19], v[178:179], v[228:231]// 000000007B34: D3D700E4 0F936512
	v_mfma_i32_16x16x32_i8 v[228:231], a[20:21], v[180:181], v[228:231]// 000000007B3C: D3D700E4 0F936914
	buffer_load_dword v32, s[20:23], 0 offen lds               // 000000007B44: E0511000 80050020
	buffer_load_dword v32, s[20:23], 0 offen offset:256 lds    // 000000007B4C: E0511100 80050020
	s_add_u32 m0, 0x38e0, s51                                  // 000000007B54: 807C33FF 000038E0
	v_mfma_i32_16x16x32_i8 v[228:231], a[22:23], v[182:183], v[228:231]// 000000007B5C: D3D700E4 0F936D16
	v_mfma_i32_16x16x32_i8 v[228:231], a[24:25], v[184:185], v[228:231]// 000000007B64: D3D700E4 0F937118
	buffer_load_dwordx4 a[92:95], v35, s[92:95], 0 offen offset:3072// 000000007B6C: E05C1C00 80975C23
	v_mfma_i32_16x16x32_i8 v[228:231], a[26:27], v[186:187], v[228:231]// 000000007B74: D3D700E4 0F93751A
	v_mfma_i32_16x16x32_i8 v[228:231], a[28:29], v[188:189], v[228:231]// 000000007B7C: D3D700E4 0F93791C
	buffer_load_dword v33, s[20:23], 0 offen lds               // 000000007B84: E0511000 80050021
	buffer_load_dword v33, s[20:23], 0 offen offset:256 lds    // 000000007B8C: E0511100 80050021
	s_add_u32 m0, 0, s50                                       // 000000007B94: 807C3280
	v_mfma_i32_16x16x32_i8 v[228:231], a[30:31], v[190:191], v[228:231]// 000000007B98: D3D700E4 0F937D1E
	buffer_load_dword v14, v6, s[28:31], 0 offen               // 000000007BA0: E0501000 80070E06
	v_cvt_f32_i32_e32 v224, v224                               // 000000007BA8: 7FC00BE0
	v_cvt_f32_i32_e32 v225, v225                               // 000000007BAC: 7FC20BE1
	v_cvt_f32_i32_e32 v226, v226                               // 000000007BB0: 7FC40BE2
	v_cvt_f32_i32_e32 v227, v227                               // 000000007BB4: 7FC60BE3
	v_pk_fma_f32 v[136:137], v[224:225], v[232:233], v[136:137]// 000000007BB8: D3B04088 1E23D1E0
	v_pk_fma_f32 v[138:139], v[226:227], v[232:233], v[138:139]// 000000007BC0: D3B0408A 1E2BD1E2
	s_waitcnt vmcnt(29)                                        // 000000007BC8: BF8C4F7D
	v_mfma_i32_16x16x32_i8 v[224:227], a[32:33], v[160:161], 0 // 000000007BCC: D3D700E0 0A034120
	buffer_load_dwordx4 a[96:99], v36, s[92:95], 0 offen       // 000000007BD4: E05C1000 80976024
	v_mfma_i32_16x16x32_i8 v[224:227], a[34:35], v[162:163], v[224:227]// 000000007BDC: D3D700E0 0F834522
	v_mfma_i32_16x16x32_i8 v[224:227], a[36:37], v[164:165], v[224:227]// 000000007BE4: D3D700E0 0F834924
	v_mfma_i32_16x16x32_i8 v[224:227], a[38:39], v[166:167], v[224:227]// 000000007BEC: D3D700E0 0F834D26
	v_mfma_i32_16x16x32_i8 v[224:227], a[40:41], v[168:169], v[224:227]// 000000007BF4: D3D700E0 0F835128
	buffer_load_dwordx4 a[100:103], v36, s[92:95], 0 offen offset:1024// 000000007BFC: E05C1400 80976424
	v_mfma_i32_16x16x32_i8 v[224:227], a[42:43], v[170:171], v[224:227]// 000000007C04: D3D700E0 0F83552A
	v_mfma_i32_16x16x32_i8 v[224:227], a[44:45], v[172:173], v[224:227]// 000000007C0C: D3D700E0 0F83592C
	v_mfma_i32_16x16x32_i8 v[224:227], a[46:47], v[174:175], v[224:227]// 000000007C14: D3D700E0 0F835D2E
	v_cvt_f32_i32_e32 v228, v228                               // 000000007C1C: 7FC80BE4
	v_cvt_f32_i32_e32 v229, v229                               // 000000007C20: 7FCA0BE5
	v_cvt_f32_i32_e32 v230, v230                               // 000000007C24: 7FCC0BE6
	v_cvt_f32_i32_e32 v231, v231                               // 000000007C28: 7FCE0BE7
	v_pk_fma_f32 v[140:141], v[228:229], v[234:235], v[140:141]// 000000007C2C: D3B0408C 1E33D5E4
	v_pk_fma_f32 v[142:143], v[230:231], v[234:235], v[142:143]// 000000007C34: D3B0408E 1E3BD5E6
	v_mfma_i32_16x16x32_i8 v[228:231], a[32:33], v[176:177], 0 // 000000007C3C: D3D700E4 0A036120
	buffer_load_dwordx4 a[104:107], v36, s[92:95], 0 offen offset:2048// 000000007C44: E05C1800 80976824
	v_mfma_i32_16x16x32_i8 v[228:231], a[34:35], v[178:179], v[228:231]// 000000007C4C: D3D700E4 0F936522
	v_mfma_i32_16x16x32_i8 v[228:231], a[36:37], v[180:181], v[228:231]// 000000007C54: D3D700E4 0F936924
	v_mfma_i32_16x16x32_i8 v[228:231], a[38:39], v[182:183], v[228:231]// 000000007C5C: D3D700E4 0F936D26
	v_mfma_i32_16x16x32_i8 v[228:231], a[40:41], v[184:185], v[228:231]// 000000007C64: D3D700E4 0F937128
	buffer_load_dwordx4 a[108:111], v36, s[92:95], 0 offen offset:3072// 000000007C6C: E05C1C00 80976C24
	v_mfma_i32_16x16x32_i8 v[228:231], a[42:43], v[186:187], v[228:231]// 000000007C74: D3D700E4 0F93752A
	v_mfma_i32_16x16x32_i8 v[228:231], a[44:45], v[188:189], v[228:231]// 000000007C7C: D3D700E4 0F93792C
	v_mfma_i32_16x16x32_i8 v[228:231], a[46:47], v[190:191], v[228:231]// 000000007C84: D3D700E4 0F937D2E
	v_cvt_f32_i32_e32 v224, v224                               // 000000007C8C: 7FC00BE0
	v_cvt_f32_i32_e32 v225, v225                               // 000000007C90: 7FC20BE1
	v_cvt_f32_i32_e32 v226, v226                               // 000000007C94: 7FC40BE2
	v_cvt_f32_i32_e32 v227, v227                               // 000000007C98: 7FC60BE3
	v_pk_fma_f32 v[144:145], v[224:225], v[232:233], v[144:145]// 000000007C9C: D3B04090 1E43D1E0
	v_pk_fma_f32 v[146:147], v[226:227], v[232:233], v[146:147]// 000000007CA4: D3B04092 1E4BD1E2
	s_waitcnt vmcnt(29)                                        // 000000007CAC: BF8C4F7D
	v_mfma_i32_16x16x32_i8 v[224:227], a[48:49], v[160:161], 0 // 000000007CB0: D3D700E0 0A034130
	buffer_load_dwordx4 a[112:115], v37, s[92:95], 0 offen     // 000000007CB8: E05C1000 80977025
	v_mfma_i32_16x16x32_i8 v[224:227], a[50:51], v[162:163], v[224:227]// 000000007CC0: D3D700E0 0F834532
	v_mfma_i32_16x16x32_i8 v[224:227], a[52:53], v[164:165], v[224:227]// 000000007CC8: D3D700E0 0F834934
	v_mfma_i32_16x16x32_i8 v[224:227], a[54:55], v[166:167], v[224:227]// 000000007CD0: D3D700E0 0F834D36
	v_mfma_i32_16x16x32_i8 v[224:227], a[56:57], v[168:169], v[224:227]// 000000007CD8: D3D700E0 0F835138
	buffer_load_dwordx4 a[116:119], v37, s[92:95], 0 offen offset:1024// 000000007CE0: E05C1400 80977425
	v_mfma_i32_16x16x32_i8 v[224:227], a[58:59], v[170:171], v[224:227]// 000000007CE8: D3D700E0 0F83553A
	v_mfma_i32_16x16x32_i8 v[224:227], a[60:61], v[172:173], v[224:227]// 000000007CF0: D3D700E0 0F83593C
	v_mfma_i32_16x16x32_i8 v[224:227], a[62:63], v[174:175], v[224:227]// 000000007CF8: D3D700E0 0F835D3E
	v_cvt_f32_i32_e32 v228, v228                               // 000000007D00: 7FC80BE4
	v_cvt_f32_i32_e32 v229, v229                               // 000000007D04: 7FCA0BE5
	v_cvt_f32_i32_e32 v230, v230                               // 000000007D08: 7FCC0BE6
	v_cvt_f32_i32_e32 v231, v231                               // 000000007D0C: 7FCE0BE7
	v_pk_fma_f32 v[148:149], v[228:229], v[234:235], v[148:149]// 000000007D10: D3B04094 1E53D5E4
	v_pk_fma_f32 v[150:151], v[230:231], v[234:235], v[150:151]// 000000007D18: D3B04096 1E5BD5E6
	v_mfma_i32_16x16x32_i8 v[228:231], a[48:49], v[176:177], 0 // 000000007D20: D3D700E4 0A036130
	buffer_load_dwordx4 a[120:123], v37, s[92:95], 0 offen offset:2048// 000000007D28: E05C1800 80977825
	v_mfma_i32_16x16x32_i8 v[228:231], a[50:51], v[178:179], v[228:231]// 000000007D30: D3D700E4 0F936532
	v_mfma_i32_16x16x32_i8 v[228:231], a[52:53], v[180:181], v[228:231]// 000000007D38: D3D700E4 0F936934
	v_mfma_i32_16x16x32_i8 v[228:231], a[54:55], v[182:183], v[228:231]// 000000007D40: D3D700E4 0F936D36
	v_mfma_i32_16x16x32_i8 v[228:231], a[56:57], v[184:185], v[228:231]// 000000007D48: D3D700E4 0F937138
	buffer_load_dwordx4 a[124:127], v37, s[92:95], 0 offen offset:3072// 000000007D50: E05C1C00 80977C25
	v_mfma_i32_16x16x32_i8 v[228:231], a[58:59], v[186:187], v[228:231]// 000000007D58: D3D700E4 0F93753A
	v_mfma_i32_16x16x32_i8 v[228:231], a[60:61], v[188:189], v[228:231]// 000000007D60: D3D700E4 0F93793C
	v_mfma_i32_16x16x32_i8 v[228:231], a[62:63], v[190:191], v[228:231]// 000000007D68: D3D700E4 0F937D3E
	v_cvt_f32_i32_e32 v224, v224                               // 000000007D70: 7FC00BE0
	v_cvt_f32_i32_e32 v225, v225                               // 000000007D74: 7FC20BE1
	v_cvt_f32_i32_e32 v226, v226                               // 000000007D78: 7FC40BE2
	v_cvt_f32_i32_e32 v227, v227                               // 000000007D7C: 7FC60BE3
	v_pk_fma_f32 v[152:153], v[224:225], v[232:233], v[152:153]// 000000007D80: D3B04098 1E63D1E0
	v_pk_fma_f32 v[154:155], v[226:227], v[232:233], v[154:155]// 000000007D88: D3B0409A 1E6BD1E2
	v_cvt_f32_i32_e32 v228, v228                               // 000000007D90: 7FC80BE4
	v_cvt_f32_i32_e32 v229, v229                               // 000000007D94: 7FCA0BE5
	v_cvt_f32_i32_e32 v230, v230                               // 000000007D98: 7FCC0BE6
	v_cvt_f32_i32_e32 v231, v231                               // 000000007D9C: 7FCE0BE7
	v_pk_fma_f32 v[156:157], v[228:229], v[234:235], v[156:157]// 000000007DA0: D3B0409C 1E73D5E4
	v_pk_fma_f32 v[158:159], v[230:231], v[234:235], v[158:159]// 000000007DA8: D3B0409E 1E7BD5E6
	s_waitcnt vmcnt(8)                                         // 000000007DB0: BF8C0F78
	s_barrier                                                  // 000000007DB4: BF8A0000
	v_mfma_i32_16x16x32_i8 v[224:227], a[64:65], v[160:161], 0 // 000000007DB8: D3D700E0 0A034140
	buffer_load_dwordx4 a[0:3], v34, s[24:27], 0 offen         // 000000007DC0: E05C1000 80860022
	v_mfma_i32_16x16x32_i8 v[224:227], a[66:67], v[162:163], v[224:227]// 000000007DC8: D3D700E0 0F834542
	ds_read_b64 v[192:193], v2 offset:18688                    // 000000007DD0: D8EC4900 C0000002
	ds_read_b64 v[196:197], v2 offset:27008                    // 000000007DD8: D8EC6980 C4000002
	v_mfma_i32_16x16x32_i8 v[224:227], a[68:69], v[164:165], v[224:227]// 000000007DE0: D3D700E0 0F834944
	v_mfma_i32_16x16x32_i8 v[224:227], a[70:71], v[166:167], v[224:227]// 000000007DE8: D3D700E0 0F834D46
	ds_read_b64 v[200:201], v2 offset:18816                    // 000000007DF0: D8EC4980 C8000002
	ds_read_b64 v[204:205], v2 offset:27136                    // 000000007DF8: D8EC6A00 CC000002
	v_mfma_i32_16x16x32_i8 v[224:227], a[72:73], v[168:169], v[224:227]// 000000007E00: D3D700E0 0F835148
	buffer_load_dwordx4 a[4:7], v34, s[24:27], 0 offen offset:1024// 000000007E08: E05C1400 80860422
	v_mfma_i32_16x16x32_i8 v[224:227], a[74:75], v[170:171], v[224:227]// 000000007E10: D3D700E0 0F83554A
	ds_read_b64 v[208:209], v2 offset:18944                    // 000000007E18: D8EC4A00 D0000002
	ds_read_b64 v[212:213], v2 offset:27264                    // 000000007E20: D8EC6A80 D4000002
	v_mfma_i32_16x16x32_i8 v[224:227], a[76:77], v[172:173], v[224:227]// 000000007E28: D3D700E0 0F83594C
	v_mfma_i32_16x16x32_i8 v[224:227], a[78:79], v[174:175], v[224:227]// 000000007E30: D3D700E0 0F835D4E
	ds_read_b64 v[216:217], v2 offset:19072                    // 000000007E38: D8EC4A80 D8000002
	ds_read_b64 v[220:221], v2 offset:27392                    // 000000007E40: D8EC6B00 DC000002
	s_waitcnt lgkmcnt(4)                                       // 000000007E48: BF8CC47F
	v_and_b32_e32 v195, 0xffff0000, v193                       // 000000007E4C: 278782FF FFFF0000
	v_lshlrev_b32_e32 v194, 16, v193                           // 000000007E54: 25858290
	v_and_b32_e32 v193, 0xffff0000, v192                       // 000000007E58: 278380FF FFFF0000
	v_lshlrev_b32_e32 v192, 16, v192                           // 000000007E60: 25818090
	v_and_b32_e32 v199, 0xffff0000, v197                       // 000000007E64: 278F8AFF FFFF0000
	v_lshlrev_b32_e32 v198, 16, v197                           // 000000007E6C: 258D8A90
	v_and_b32_e32 v197, 0xffff0000, v196                       // 000000007E70: 278B88FF FFFF0000
	v_lshlrev_b32_e32 v196, 16, v196                           // 000000007E78: 25898890
	v_and_b32_e32 v203, 0xffff0000, v201                       // 000000007E7C: 279792FF FFFF0000
	v_lshlrev_b32_e32 v202, 16, v201                           // 000000007E84: 25959290
	v_and_b32_e32 v201, 0xffff0000, v200                       // 000000007E88: 279390FF FFFF0000
	v_lshlrev_b32_e32 v200, 16, v200                           // 000000007E90: 25919090
	v_and_b32_e32 v207, 0xffff0000, v205                       // 000000007E94: 279F9AFF FFFF0000
	v_lshlrev_b32_e32 v206, 16, v205                           // 000000007E9C: 259D9A90
	v_and_b32_e32 v205, 0xffff0000, v204                       // 000000007EA0: 279B98FF FFFF0000
	v_lshlrev_b32_e32 v204, 16, v204                           // 000000007EA8: 25999890
	v_mul_f32_dpp v192, v14, v192 row_newbcast:0 row_mask:0xf bank_mask:0xf// 000000007EAC: 0B8180FA FF01500E
	v_mul_f32_dpp v193, v14, v193 row_newbcast:1 row_mask:0xf bank_mask:0xf// 000000007EB4: 0B8382FA FF01510E
	v_mul_f32_dpp v194, v14, v194 row_newbcast:2 row_mask:0xf bank_mask:0xf// 000000007EBC: 0B8584FA FF01520E
	v_mul_f32_dpp v195, v14, v195 row_newbcast:3 row_mask:0xf bank_mask:0xf// 000000007EC4: 0B8786FA FF01530E
	v_mul_f32_dpp v196, v14, v196 row_newbcast:0 row_mask:0xf bank_mask:0xf// 000000007ECC: 0B8988FA FF01500E
	v_mul_f32_dpp v197, v14, v197 row_newbcast:1 row_mask:0xf bank_mask:0xf// 000000007ED4: 0B8B8AFA FF01510E
	v_mul_f32_dpp v198, v14, v198 row_newbcast:2 row_mask:0xf bank_mask:0xf// 000000007EDC: 0B8D8CFA FF01520E
	v_mul_f32_dpp v199, v14, v199 row_newbcast:3 row_mask:0xf bank_mask:0xf// 000000007EE4: 0B8F8EFA FF01530E
	v_mul_f32_dpp v200, v14, v200 row_newbcast:4 row_mask:0xf bank_mask:0xf// 000000007EEC: 0B9190FA FF01540E
	v_mul_f32_dpp v201, v14, v201 row_newbcast:5 row_mask:0xf bank_mask:0xf// 000000007EF4: 0B9392FA FF01550E
	v_mul_f32_dpp v202, v14, v202 row_newbcast:6 row_mask:0xf bank_mask:0xf// 000000007EFC: 0B9594FA FF01560E
	v_mul_f32_dpp v203, v14, v203 row_newbcast:7 row_mask:0xf bank_mask:0xf// 000000007F04: 0B9796FA FF01570E
	v_mul_f32_dpp v204, v14, v204 row_newbcast:4 row_mask:0xf bank_mask:0xf// 000000007F0C: 0B9998FA FF01540E
	v_mul_f32_dpp v205, v14, v205 row_newbcast:5 row_mask:0xf bank_mask:0xf// 000000007F14: 0B9B9AFA FF01550E
	v_mul_f32_dpp v206, v14, v206 row_newbcast:6 row_mask:0xf bank_mask:0xf// 000000007F1C: 0B9D9CFA FF01560E
	v_mul_f32_dpp v207, v14, v207 row_newbcast:7 row_mask:0xf bank_mask:0xf// 000000007F24: 0B9F9EFA FF01570E
	s_waitcnt lgkmcnt(0)                                       // 000000007F2C: BF8CC07F
	v_and_b32_e32 v211, 0xffff0000, v209                       // 000000007F30: 27A7A2FF FFFF0000
	v_lshlrev_b32_e32 v210, 16, v209                           // 000000007F38: 25A5A290
	v_and_b32_e32 v209, 0xffff0000, v208                       // 000000007F3C: 27A3A0FF FFFF0000
	v_lshlrev_b32_e32 v208, 16, v208                           // 000000007F44: 25A1A090
	v_and_b32_e32 v215, 0xffff0000, v213                       // 000000007F48: 27AFAAFF FFFF0000
	v_lshlrev_b32_e32 v214, 16, v213                           // 000000007F50: 25ADAA90
	v_and_b32_e32 v213, 0xffff0000, v212                       // 000000007F54: 27ABA8FF FFFF0000
	v_lshlrev_b32_e32 v212, 16, v212                           // 000000007F5C: 25A9A890
	v_and_b32_e32 v219, 0xffff0000, v217                       // 000000007F60: 27B7B2FF FFFF0000
	v_lshlrev_b32_e32 v218, 16, v217                           // 000000007F68: 25B5B290
	v_and_b32_e32 v217, 0xffff0000, v216                       // 000000007F6C: 27B3B0FF FFFF0000
	v_lshlrev_b32_e32 v216, 16, v216                           // 000000007F74: 25B1B090
	v_and_b32_e32 v223, 0xffff0000, v221                       // 000000007F78: 27BFBAFF FFFF0000
	v_lshlrev_b32_e32 v222, 16, v221                           // 000000007F80: 25BDBA90
	v_and_b32_e32 v221, 0xffff0000, v220                       // 000000007F84: 27BBB8FF FFFF0000
	v_lshlrev_b32_e32 v220, 16, v220                           // 000000007F8C: 25B9B890
	v_mul_f32_dpp v208, v14, v208 row_newbcast:8 row_mask:0xf bank_mask:0xf// 000000007F90: 0BA1A0FA FF01580E
	v_mul_f32_dpp v209, v14, v209 row_newbcast:9 row_mask:0xf bank_mask:0xf// 000000007F98: 0BA3A2FA FF01590E
	v_mul_f32_dpp v210, v14, v210 row_newbcast:10 row_mask:0xf bank_mask:0xf// 000000007FA0: 0BA5A4FA FF015A0E
	v_mul_f32_dpp v211, v14, v211 row_newbcast:11 row_mask:0xf bank_mask:0xf// 000000007FA8: 0BA7A6FA FF015B0E
	v_mul_f32_dpp v212, v14, v212 row_newbcast:8 row_mask:0xf bank_mask:0xf// 000000007FB0: 0BA9A8FA FF01580E
	v_mul_f32_dpp v213, v14, v213 row_newbcast:9 row_mask:0xf bank_mask:0xf// 000000007FB8: 0BABAAFA FF01590E
	v_mul_f32_dpp v214, v14, v214 row_newbcast:10 row_mask:0xf bank_mask:0xf// 000000007FC0: 0BADACFA FF015A0E
	v_mul_f32_dpp v215, v14, v215 row_newbcast:11 row_mask:0xf bank_mask:0xf// 000000007FC8: 0BAFAEFA FF015B0E
	v_mul_f32_dpp v216, v14, v216 row_newbcast:12 row_mask:0xf bank_mask:0xf// 000000007FD0: 0BB1B0FA FF015C0E
	v_mul_f32_dpp v217, v14, v217 row_newbcast:13 row_mask:0xf bank_mask:0xf// 000000007FD8: 0BB3B2FA FF015D0E
	v_mul_f32_dpp v218, v14, v218 row_newbcast:14 row_mask:0xf bank_mask:0xf// 000000007FE0: 0BB5B4FA FF015E0E
	v_mul_f32_dpp v219, v14, v219 row_newbcast:15 row_mask:0xf bank_mask:0xf// 000000007FE8: 0BB7B6FA FF015F0E
	v_mul_f32_dpp v220, v14, v220 row_newbcast:12 row_mask:0xf bank_mask:0xf// 000000007FF0: 0BB9B8FA FF015C0E
	v_mul_f32_dpp v221, v14, v221 row_newbcast:13 row_mask:0xf bank_mask:0xf// 000000007FF8: 0BBBBAFA FF015D0E
	v_mul_f32_dpp v222, v14, v222 row_newbcast:14 row_mask:0xf bank_mask:0xf// 000000008000: 0BBDBCFA FF015E0E
	v_mul_f32_dpp v223, v14, v223 row_newbcast:15 row_mask:0xf bank_mask:0xf// 000000008008: 0BBFBEFA FF015F0E
	v_mfma_i32_16x16x32_i8 v[228:231], a[64:65], v[176:177], 0 // 000000008010: D3D700E4 0A036140
	buffer_load_dwordx4 a[8:11], v34, s[24:27], 0 offen offset:2048// 000000008018: E05C1800 80860822
	v_mfma_i32_16x16x32_i8 v[228:231], a[66:67], v[178:179], v[228:231]// 000000008020: D3D700E4 0F936542
	v_mov_b32_e32 v42, 0x358637bd                              // 000000008028: 7E5402FF 358637BD
	v_mov_b32_e32 v43, 0x358637bd                              // 000000008030: 7E5602FF 358637BD
	v_max3_f32 v42, |v192|, |v193|, v42                        // 000000008038: D1D3032A 04AB83C0
	v_max3_f32 v42, |v194|, |v195|, v42                        // 000000008040: D1D3032A 04AB87C2
	v_max3_f32 v43, |v196|, |v197|, v43                        // 000000008048: D1D3032B 04AF8BC4
	v_max3_f32 v43, |v198|, |v199|, v43                        // 000000008050: D1D3032B 04AF8FC6
	v_max3_f32 v42, |v200|, |v201|, v42                        // 000000008058: D1D3032A 04AB93C8
	v_max3_f32 v42, |v202|, |v203|, v42                        // 000000008060: D1D3032A 04AB97CA
	v_max3_f32 v43, |v204|, |v205|, v43                        // 000000008068: D1D3032B 04AF9BCC
	v_max3_f32 v43, |v206|, |v207|, v43                        // 000000008070: D1D3032B 04AF9FCE
	v_max3_f32 v42, |v208|, |v209|, v42                        // 000000008078: D1D3032A 04ABA3D0
	v_max3_f32 v42, |v210|, |v211|, v42                        // 000000008080: D1D3032A 04ABA7D2
	v_max3_f32 v43, |v212|, |v213|, v43                        // 000000008088: D1D3032B 04AFABD4
	v_max3_f32 v43, |v214|, |v215|, v43                        // 000000008090: D1D3032B 04AFAFD6
	v_max3_f32 v42, |v216|, |v217|, v42                        // 000000008098: D1D3032A 04ABB3D8
	v_max3_f32 v42, |v218|, |v219|, v42                        // 0000000080A0: D1D3032A 04ABB7DA
	v_max3_f32 v43, |v220|, |v221|, v43                        // 0000000080A8: D1D3032B 04AFBBDC
	v_max3_f32 v43, |v222|, |v223|, v43                        // 0000000080B0: D1D3032B 04AFBFDE
	v_mfma_i32_16x16x32_i8 v[228:231], a[68:69], v[180:181], v[228:231]// 0000000080B8: D3D700E4 0F936944
	v_mfma_i32_16x16x32_i8 v[228:231], a[70:71], v[182:183], v[228:231]// 0000000080C0: D3D700E4 0F936D46
	ds_write_b64 v3, v[42:43]                                  // 0000000080C8: D89A0000 00002A03
	v_mfma_i32_16x16x32_i8 v[228:231], a[72:73], v[184:185], v[228:231]// 0000000080D0: D3D700E4 0F937148
	buffer_load_dwordx4 a[12:15], v34, s[24:27], 0 offen offset:3072// 0000000080D8: E05C1C00 80860C22
	v_mfma_i32_16x16x32_i8 v[228:231], a[74:75], v[186:187], v[228:231]// 0000000080E0: D3D700E4 0F93754A
	s_waitcnt lgkmcnt(0)                                       // 0000000080E8: BF8CC07F
	s_barrier                                                  // 0000000080EC: BF8A0000
	v_mfma_i32_16x16x32_i8 v[228:231], a[76:77], v[188:189], v[228:231]// 0000000080F0: D3D700E4 0F93794C
	v_mfma_i32_16x16x32_i8 v[228:231], a[78:79], v[190:191], v[228:231]// 0000000080F8: D3D700E4 0F937D4E
	ds_read_b64 v[42:43], v4                                   // 000000008100: D8EC0000 2A000004
	ds_read_b64 v[44:45], v4 offset:128                        // 000000008108: D8EC0080 2C000004
	v_cvt_f32_i32_e32 v224, v224                               // 000000008110: 7FC00BE0
	v_cvt_f32_i32_e32 v225, v225                               // 000000008114: 7FC20BE1
	v_cvt_f32_i32_e32 v226, v226                               // 000000008118: 7FC40BE2
	v_cvt_f32_i32_e32 v227, v227                               // 00000000811C: 7FC60BE3
	v_pk_fma_f32 v[64:65], v[224:225], v[232:233], v[64:65]    // 000000008120: D3B04040 1D03D1E0
	v_pk_fma_f32 v[66:67], v[226:227], v[232:233], v[66:67]    // 000000008128: D3B04042 1D0BD1E2
	v_mfma_i32_16x16x32_i8 v[224:227], a[80:81], v[160:161], 0 // 000000008130: D3D700E0 0A034150
	buffer_load_dwordx4 a[16:19], v35, s[24:27], 0 offen       // 000000008138: E05C1000 80861023
	v_mfma_i32_16x16x32_i8 v[224:227], a[82:83], v[162:163], v[224:227]// 000000008140: D3D700E0 0F834552
	ds_read_b64 v[46:47], v4 offset:256                        // 000000008148: D8EC0100 2E000004
	ds_read_b64 v[48:49], v4 offset:384                        // 000000008150: D8EC0180 30000004
	v_mfma_i32_16x16x32_i8 v[224:227], a[84:85], v[164:165], v[224:227]// 000000008158: D3D700E0 0F834954
	v_mfma_i32_16x16x32_i8 v[224:227], a[86:87], v[166:167], v[224:227]// 000000008160: D3D700E0 0F834D56
	ds_read_b64 v[50:51], v4 offset:512                        // 000000008168: D8EC0200 32000004
	ds_read_b64 v[52:53], v4 offset:640                        // 000000008170: D8EC0280 34000004
	v_mfma_i32_16x16x32_i8 v[224:227], a[88:89], v[168:169], v[224:227]// 000000008178: D3D700E0 0F835158
	buffer_load_dwordx4 a[20:23], v35, s[24:27], 0 offen offset:1024// 000000008180: E05C1400 80861423
	v_mfma_i32_16x16x32_i8 v[224:227], a[90:91], v[170:171], v[224:227]// 000000008188: D3D700E0 0F83555A
	ds_read_b64 v[54:55], v4 offset:768                        // 000000008190: D8EC0300 36000004
	ds_read_b64 v[56:57], v4 offset:896                        // 000000008198: D8EC0380 38000004
	v_mfma_i32_16x16x32_i8 v[224:227], a[92:93], v[172:173], v[224:227]// 0000000081A0: D3D700E0 0F83595C
	v_mfma_i32_16x16x32_i8 v[224:227], a[94:95], v[174:175], v[224:227]// 0000000081A8: D3D700E0 0F835D5E
	s_waitcnt lgkmcnt(0)                                       // 0000000081B0: BF8CC07F
	v_mov_b32_e32 v20, 0x358637bd                              // 0000000081B4: 7E2802FF 358637BD
	v_mov_b32_e32 v21, 0x358637bd                              // 0000000081BC: 7E2A02FF 358637BD
	v_max3_f32 v20, |v42|, |v44|, v20                          // 0000000081C4: D1D30314 0452592A
	v_max3_f32 v21, |v43|, |v45|, v21                          // 0000000081CC: D1D30315 04565B2B
	v_max3_f32 v20, |v46|, |v48|, v20                          // 0000000081D4: D1D30314 0452612E
	v_max3_f32 v21, |v47|, |v49|, v21                          // 0000000081DC: D1D30315 0456632F
	v_max3_f32 v20, |v50|, |v52|, v20                          // 0000000081E4: D1D30314 04526932
	v_max3_f32 v21, |v51|, |v53|, v21                          // 0000000081EC: D1D30315 04566B33
	v_max3_f32 v20, |v54|, |v56|, v20                          // 0000000081F4: D1D30314 04527136
	v_max3_f32 v21, |v55|, |v57|, v21                          // 0000000081FC: D1D30315 04567337
	v_cvt_f32_i32_e32 v228, v228                               // 000000008204: 7FC80BE4
	v_cvt_f32_i32_e32 v229, v229                               // 000000008208: 7FCA0BE5
	v_cvt_f32_i32_e32 v230, v230                               // 00000000820C: 7FCC0BE6
	v_cvt_f32_i32_e32 v231, v231                               // 000000008210: 7FCE0BE7
	v_pk_fma_f32 v[68:69], v[228:229], v[234:235], v[68:69]    // 000000008214: D3B04044 1D13D5E4
	v_pk_fma_f32 v[70:71], v[230:231], v[234:235], v[70:71]    // 00000000821C: D3B04046 1D1BD5E6
	v_mfma_i32_16x16x32_i8 v[228:231], a[80:81], v[176:177], 0 // 000000008224: D3D700E4 0A036150
	buffer_load_dwordx4 a[24:27], v35, s[24:27], 0 offen offset:2048// 00000000822C: E05C1800 80861823
	v_mfma_i32_16x16x32_i8 v[228:231], a[82:83], v[178:179], v[228:231]// 000000008234: D3D700E4 0F936552
	ds_read_b64 v[42:43], v4 offset:1024                       // 00000000823C: D8EC0400 2A000004
	ds_read_b64 v[44:45], v4 offset:1152                       // 000000008244: D8EC0480 2C000004
	v_mfma_i32_16x16x32_i8 v[228:231], a[84:85], v[180:181], v[228:231]// 00000000824C: D3D700E4 0F936954
	v_mfma_i32_16x16x32_i8 v[228:231], a[86:87], v[182:183], v[228:231]// 000000008254: D3D700E4 0F936D56
	ds_read_b64 v[46:47], v4 offset:1280                       // 00000000825C: D8EC0500 2E000004
	ds_read_b64 v[48:49], v4 offset:1408                       // 000000008264: D8EC0580 30000004
	v_mfma_i32_16x16x32_i8 v[228:231], a[88:89], v[184:185], v[228:231]// 00000000826C: D3D700E4 0F937158
	buffer_load_dwordx4 a[28:31], v35, s[24:27], 0 offen offset:3072// 000000008274: E05C1C00 80861C23
	v_mfma_i32_16x16x32_i8 v[228:231], a[90:91], v[186:187], v[228:231]// 00000000827C: D3D700E4 0F93755A
	ds_read_b64 v[50:51], v4 offset:1536                       // 000000008284: D8EC0600 32000004
	ds_read_b64 v[52:53], v4 offset:1664                       // 00000000828C: D8EC0680 34000004
	v_mfma_i32_16x16x32_i8 v[228:231], a[92:93], v[188:189], v[228:231]// 000000008294: D3D700E4 0F93795C
	v_mfma_i32_16x16x32_i8 v[228:231], a[94:95], v[190:191], v[228:231]// 00000000829C: D3D700E4 0F937D5E
	ds_read_b64 v[54:55], v4 offset:1792                       // 0000000082A4: D8EC0700 36000004
	ds_read_b64 v[56:57], v4 offset:1920                       // 0000000082AC: D8EC0780 38000004
	v_cvt_f32_i32_e32 v224, v224                               // 0000000082B4: 7FC00BE0
	v_cvt_f32_i32_e32 v225, v225                               // 0000000082B8: 7FC20BE1
	v_cvt_f32_i32_e32 v226, v226                               // 0000000082BC: 7FC40BE2
	v_cvt_f32_i32_e32 v227, v227                               // 0000000082C0: 7FC60BE3
	v_pk_fma_f32 v[72:73], v[224:225], v[232:233], v[72:73]    // 0000000082C4: D3B04048 1D23D1E0
	v_pk_fma_f32 v[74:75], v[226:227], v[232:233], v[74:75]    // 0000000082CC: D3B0404A 1D2BD1E2
	s_waitcnt vmcnt(12)                                        // 0000000082D4: BF8C0F7C
	v_mfma_i32_16x16x32_i8 v[224:227], a[96:97], v[160:161], 0 // 0000000082D8: D3D700E0 0A034160
	buffer_load_dwordx4 a[32:35], v36, s[24:27], 0 offen       // 0000000082E0: E05C1000 80862024
	v_mfma_i32_16x16x32_i8 v[224:227], a[98:99], v[162:163], v[224:227]// 0000000082E8: D3D700E0 0F834562
	s_waitcnt lgkmcnt(0)                                       // 0000000082F0: BF8CC07F
	v_max3_f32 v20, |v42|, |v44|, v20                          // 0000000082F4: D1D30314 0452592A
	v_max3_f32 v21, |v43|, |v45|, v21                          // 0000000082FC: D1D30315 04565B2B
	v_max3_f32 v20, |v46|, |v48|, v20                          // 000000008304: D1D30314 0452612E
	v_max3_f32 v21, |v47|, |v49|, v21                          // 00000000830C: D1D30315 0456632F
	v_max3_f32 v20, |v50|, |v52|, v20                          // 000000008314: D1D30314 04526932
	v_max3_f32 v21, |v51|, |v53|, v21                          // 00000000831C: D1D30315 04566B33
	v_max3_f32 v20, |v54|, |v56|, v20                          // 000000008324: D1D30314 04527136
	v_max3_f32 v21, |v55|, |v57|, v21                          // 00000000832C: D1D30315 04567337
	v_mov_b32_e32 v38, 0x42fe0000                              // 000000008334: 7E4C02FF 42FE0000
	v_rcp_f32_e32 v20, v20                                     // 00000000833C: 7E284514
	v_rcp_f32_e32 v21, v21                                     // 000000008340: 7E2A4515
	s_nop 1                                                    // 000000008344: BF800001
	v_mul_f32_e32 v20, v38, v20                                // 000000008348: 0A282926
	v_mul_f32_e32 v21, v38, v21                                // 00000000834C: 0A2A2B26
	v_rcp_f32_e32 v24, v20                                     // 000000008350: 7E304514
	v_rcp_f32_e32 v25, v21                                     // 000000008354: 7E324515
	v_mov_b32_e32 v38, v20                                     // 000000008358: 7E4C0314
	v_mov_b32_e32 v39, v20                                     // 00000000835C: 7E4E0314
	v_mov_b32_e32 v40, v21                                     // 000000008360: 7E500315
	v_mov_b32_e32 v41, v21                                     // 000000008364: 7E520315
	v_pk_mul_f32 v[192:193], v[38:39], v[192:193]              // 000000008368: D3B140C0 18038126
	v_pk_mul_f32 v[194:195], v[38:39], v[194:195]              // 000000008370: D3B140C2 18038526
	v_cvt_i32_f32_e32 v192, v192                               // 000000008378: 7F8011C0
	v_cvt_i32_f32_e32 v193, v193                               // 00000000837C: 7F8211C1
	v_cvt_i32_f32_e32 v194, v194                               // 000000008380: 7F8411C2
	v_cvt_i32_f32_e32 v195, v195                               // 000000008384: 7F8611C3
	v_perm_b32 v192, v193, v192, s53                           // 000000008388: D1ED00C0 00D781C1
	v_perm_b32 v192, v194, v192, s54                           // 000000008390: D1ED00C0 00DB81C2
	v_perm_b32 v192, v195, v192, s55                           // 000000008398: D1ED00C0 00DF81C3
	v_pk_mul_f32 v[196:197], v[40:41], v[196:197]              // 0000000083A0: D3B140C4 18038928
	v_pk_mul_f32 v[198:199], v[40:41], v[198:199]              // 0000000083A8: D3B140C6 18038D28
	v_cvt_i32_f32_e32 v196, v196                               // 0000000083B0: 7F8811C4
	v_cvt_i32_f32_e32 v197, v197                               // 0000000083B4: 7F8A11C5
	v_cvt_i32_f32_e32 v198, v198                               // 0000000083B8: 7F8C11C6
	v_cvt_i32_f32_e32 v199, v199                               // 0000000083BC: 7F8E11C7
	v_perm_b32 v193, v197, v196, s53                           // 0000000083C0: D1ED00C1 00D789C5
	v_perm_b32 v193, v198, v193, s54                           // 0000000083C8: D1ED00C1 00DB83C6
	v_perm_b32 v193, v199, v193, s55                           // 0000000083D0: D1ED00C1 00DF83C7
	v_pk_mul_f32 v[200:201], v[38:39], v[200:201]              // 0000000083D8: D3B140C8 18039126
	v_pk_mul_f32 v[202:203], v[38:39], v[202:203]              // 0000000083E0: D3B140CA 18039526
	v_cvt_i32_f32_e32 v200, v200                               // 0000000083E8: 7F9011C8
	v_cvt_i32_f32_e32 v201, v201                               // 0000000083EC: 7F9211C9
	v_cvt_i32_f32_e32 v202, v202                               // 0000000083F0: 7F9411CA
	v_cvt_i32_f32_e32 v203, v203                               // 0000000083F4: 7F9611CB
	v_perm_b32 v194, v201, v200, s53                           // 0000000083F8: D1ED00C2 00D791C9
	v_perm_b32 v194, v202, v194, s54                           // 000000008400: D1ED00C2 00DB85CA
	v_perm_b32 v194, v203, v194, s55                           // 000000008408: D1ED00C2 00DF85CB
	v_pk_mul_f32 v[204:205], v[40:41], v[204:205]              // 000000008410: D3B140CC 18039928
	v_pk_mul_f32 v[206:207], v[40:41], v[206:207]              // 000000008418: D3B140CE 18039D28
	v_cvt_i32_f32_e32 v204, v204                               // 000000008420: 7F9811CC
	v_cvt_i32_f32_e32 v205, v205                               // 000000008424: 7F9A11CD
	v_cvt_i32_f32_e32 v206, v206                               // 000000008428: 7F9C11CE
	v_cvt_i32_f32_e32 v207, v207                               // 00000000842C: 7F9E11CF
	v_perm_b32 v195, v205, v204, s53                           // 000000008430: D1ED00C3 00D799CD
	v_perm_b32 v195, v206, v195, s54                           // 000000008438: D1ED00C3 00DB87CE
	v_perm_b32 v195, v207, v195, s55                           // 000000008440: D1ED00C3 00DF87CF
	v_pk_mul_f32 v[208:209], v[38:39], v[208:209]              // 000000008448: D3B140D0 1803A126
	v_pk_mul_f32 v[210:211], v[38:39], v[210:211]              // 000000008450: D3B140D2 1803A526
	v_cvt_i32_f32_e32 v208, v208                               // 000000008458: 7FA011D0
	v_cvt_i32_f32_e32 v209, v209                               // 00000000845C: 7FA211D1
	v_cvt_i32_f32_e32 v210, v210                               // 000000008460: 7FA411D2
	v_cvt_i32_f32_e32 v211, v211                               // 000000008464: 7FA611D3
	v_perm_b32 v196, v209, v208, s53                           // 000000008468: D1ED00C4 00D7A1D1
	v_perm_b32 v196, v210, v196, s54                           // 000000008470: D1ED00C4 00DB89D2
	v_perm_b32 v196, v211, v196, s55                           // 000000008478: D1ED00C4 00DF89D3
	v_pk_mul_f32 v[212:213], v[40:41], v[212:213]              // 000000008480: D3B140D4 1803A928
	v_pk_mul_f32 v[214:215], v[40:41], v[214:215]              // 000000008488: D3B140D6 1803AD28
	v_cvt_i32_f32_e32 v212, v212                               // 000000008490: 7FA811D4
	v_cvt_i32_f32_e32 v213, v213                               // 000000008494: 7FAA11D5
	v_cvt_i32_f32_e32 v214, v214                               // 000000008498: 7FAC11D6
	v_cvt_i32_f32_e32 v215, v215                               // 00000000849C: 7FAE11D7
	v_perm_b32 v197, v213, v212, s53                           // 0000000084A0: D1ED00C5 00D7A9D5
	v_perm_b32 v197, v214, v197, s54                           // 0000000084A8: D1ED00C5 00DB8BD6
	v_perm_b32 v197, v215, v197, s55                           // 0000000084B0: D1ED00C5 00DF8BD7
	v_pk_mul_f32 v[216:217], v[38:39], v[216:217]              // 0000000084B8: D3B140D8 1803B126
	v_pk_mul_f32 v[218:219], v[38:39], v[218:219]              // 0000000084C0: D3B140DA 1803B526
	v_cvt_i32_f32_e32 v216, v216                               // 0000000084C8: 7FB011D8
	v_cvt_i32_f32_e32 v217, v217                               // 0000000084CC: 7FB211D9
	v_cvt_i32_f32_e32 v218, v218                               // 0000000084D0: 7FB411DA
	v_cvt_i32_f32_e32 v219, v219                               // 0000000084D4: 7FB611DB
	v_perm_b32 v198, v217, v216, s53                           // 0000000084D8: D1ED00C6 00D7B1D9
	v_perm_b32 v198, v218, v198, s54                           // 0000000084E0: D1ED00C6 00DB8DDA
	v_perm_b32 v198, v219, v198, s55                           // 0000000084E8: D1ED00C6 00DF8DDB
	v_pk_mul_f32 v[220:221], v[40:41], v[220:221]              // 0000000084F0: D3B140DC 1803B928
	v_pk_mul_f32 v[222:223], v[40:41], v[222:223]              // 0000000084F8: D3B140DE 1803BD28
	v_cvt_i32_f32_e32 v220, v220                               // 000000008500: 7FB811DC
	v_cvt_i32_f32_e32 v221, v221                               // 000000008504: 7FBA11DD
	v_cvt_i32_f32_e32 v222, v222                               // 000000008508: 7FBC11DE
	v_cvt_i32_f32_e32 v223, v223                               // 00000000850C: 7FBE11DF
	v_perm_b32 v199, v221, v220, s53                           // 000000008510: D1ED00C7 00D7B9DD
	v_perm_b32 v199, v222, v199, s54                           // 000000008518: D1ED00C7 00DB8FDE
	v_perm_b32 v199, v223, v199, s55                           // 000000008520: D1ED00C7 00DF8FDF
	v_mfma_i32_16x16x32_i8 v[224:227], a[100:101], v[164:165], v[224:227]// 000000008528: D3D700E0 0F834964
	v_mfma_i32_16x16x32_i8 v[224:227], a[102:103], v[166:167], v[224:227]// 000000008530: D3D700E0 0F834D66
	ds_write_b32 v11, v192 offset:2048                         // 000000008538: D81A0800 0000C00B
	ds_write_b32 v11, v193 offset:6144                         // 000000008540: D81A1800 0000C10B
	v_mfma_i32_16x16x32_i8 v[224:227], a[104:105], v[168:169], v[224:227]// 000000008548: D3D700E0 0F835168
	buffer_load_dwordx4 a[36:39], v36, s[24:27], 0 offen offset:1024// 000000008550: E05C1400 80862424
	v_mfma_i32_16x16x32_i8 v[224:227], a[106:107], v[170:171], v[224:227]// 000000008558: D3D700E0 0F83556A
	ds_write_b32 v11, v194 offset:3072                         // 000000008560: D81A0C00 0000C20B
	ds_write_b32 v11, v195 offset:7168                         // 000000008568: D81A1C00 0000C30B
	v_mfma_i32_16x16x32_i8 v[224:227], a[108:109], v[172:173], v[224:227]// 000000008570: D3D700E0 0F83596C
	v_mfma_i32_16x16x32_i8 v[224:227], a[110:111], v[174:175], v[224:227]// 000000008578: D3D700E0 0F835D6E
	ds_write_b32 v11, v196 offset:4096                         // 000000008580: D81A1000 0000C40B
	ds_write_b32 v11, v197 offset:8192                         // 000000008588: D81A2000 0000C50B
	v_cvt_f32_i32_e32 v228, v228                               // 000000008590: 7FC80BE4
	v_cvt_f32_i32_e32 v229, v229                               // 000000008594: 7FCA0BE5
	v_cvt_f32_i32_e32 v230, v230                               // 000000008598: 7FCC0BE6
	v_cvt_f32_i32_e32 v231, v231                               // 00000000859C: 7FCE0BE7
	v_pk_fma_f32 v[76:77], v[228:229], v[234:235], v[76:77]    // 0000000085A0: D3B0404C 1D33D5E4
	v_pk_fma_f32 v[78:79], v[230:231], v[234:235], v[78:79]    // 0000000085A8: D3B0404E 1D3BD5E6
	v_mfma_i32_16x16x32_i8 v[228:231], a[96:97], v[176:177], 0 // 0000000085B0: D3D700E4 0A036160
	buffer_load_dwordx4 a[40:43], v36, s[24:27], 0 offen offset:2048// 0000000085B8: E05C1800 80862824
	v_mfma_i32_16x16x32_i8 v[228:231], a[98:99], v[178:179], v[228:231]// 0000000085C0: D3D700E4 0F936562
	ds_write_b32 v11, v198 offset:5120                         // 0000000085C8: D81A1400 0000C60B
	ds_write_b32 v11, v199 offset:9216                         // 0000000085D0: D81A2400 0000C70B
	v_mfma_i32_16x16x32_i8 v[228:231], a[100:101], v[180:181], v[228:231]// 0000000085D8: D3D700E4 0F936964
	v_mfma_i32_16x16x32_i8 v[228:231], a[102:103], v[182:183], v[228:231]// 0000000085E0: D3D700E4 0F936D66
	v_mfma_i32_16x16x32_i8 v[228:231], a[104:105], v[184:185], v[228:231]// 0000000085E8: D3D700E4 0F937168
	buffer_load_dwordx4 a[44:47], v36, s[24:27], 0 offen offset:3072// 0000000085F0: E05C1C00 80862C24
	v_mfma_i32_16x16x32_i8 v[228:231], a[106:107], v[186:187], v[228:231]// 0000000085F8: D3D700E4 0F93756A
	v_mfma_i32_16x16x32_i8 v[228:231], a[108:109], v[188:189], v[228:231]// 000000008600: D3D700E4 0F93796C
	v_mfma_i32_16x16x32_i8 v[228:231], a[110:111], v[190:191], v[228:231]// 000000008608: D3D700E4 0F937D6E
	s_waitcnt lgkmcnt(0)                                       // 000000008610: BF8CC07F
	s_barrier                                                  // 000000008614: BF8A0000
	v_cvt_f32_i32_e32 v224, v224                               // 000000008618: 7FC00BE0
	v_cvt_f32_i32_e32 v225, v225                               // 00000000861C: 7FC20BE1
	v_cvt_f32_i32_e32 v226, v226                               // 000000008620: 7FC40BE2
	v_cvt_f32_i32_e32 v227, v227                               // 000000008624: 7FC60BE3
	v_pk_fma_f32 v[80:81], v[224:225], v[232:233], v[80:81]    // 000000008628: D3B04050 1D43D1E0
	v_pk_fma_f32 v[82:83], v[226:227], v[232:233], v[82:83]    // 000000008630: D3B04052 1D4BD1E2
	s_waitcnt vmcnt(12)                                        // 000000008638: BF8C0F7C
	v_mfma_i32_16x16x32_i8 v[224:227], a[112:113], v[160:161], 0// 00000000863C: D3D700E0 0A034170
	buffer_load_dwordx4 a[48:51], v37, s[24:27], 0 offen       // 000000008644: E05C1000 80863025
	v_mfma_i32_16x16x32_i8 v[224:227], a[114:115], v[162:163], v[224:227]// 00000000864C: D3D700E0 0F834572
	ds_read_b64 v[192:193], v12 offset:2048                    // 000000008654: D8EC0800 C000000C
	ds_read_b64 v[194:195], v12 offset:2176                    // 00000000865C: D8EC0880 C200000C
	v_mfma_i32_16x16x32_i8 v[224:227], a[116:117], v[164:165], v[224:227]// 000000008664: D3D700E0 0F834974
	v_mfma_i32_16x16x32_i8 v[224:227], a[118:119], v[166:167], v[224:227]// 00000000866C: D3D700E0 0F834D76
	ds_read_b64 v[196:197], v12 offset:3072                    // 000000008674: D8EC0C00 C400000C
	ds_read_b64 v[198:199], v12 offset:3200                    // 00000000867C: D8EC0C80 C600000C
	v_mfma_i32_16x16x32_i8 v[224:227], a[120:121], v[168:169], v[224:227]// 000000008684: D3D700E0 0F835178
	buffer_load_dwordx4 a[52:55], v37, s[24:27], 0 offen offset:1024// 00000000868C: E05C1400 80863425
	v_mfma_i32_16x16x32_i8 v[224:227], a[122:123], v[170:171], v[224:227]// 000000008694: D3D700E0 0F83557A
	ds_read_b64 v[200:201], v12 offset:4096                    // 00000000869C: D8EC1000 C800000C
	ds_read_b64 v[202:203], v12 offset:4224                    // 0000000086A4: D8EC1080 CA00000C
	v_mfma_i32_16x16x32_i8 v[224:227], a[124:125], v[172:173], v[224:227]// 0000000086AC: D3D700E0 0F83597C
	v_mfma_i32_16x16x32_i8 v[224:227], a[126:127], v[174:175], v[224:227]// 0000000086B4: D3D700E0 0F835D7E
	ds_read_b64 v[204:205], v12 offset:5120                    // 0000000086BC: D8EC1400 CC00000C
	ds_read_b64 v[206:207], v12 offset:5248                    // 0000000086C4: D8EC1480 CE00000C
	v_cvt_f32_i32_e32 v228, v228                               // 0000000086CC: 7FC80BE4
	v_cvt_f32_i32_e32 v229, v229                               // 0000000086D0: 7FCA0BE5
	v_cvt_f32_i32_e32 v230, v230                               // 0000000086D4: 7FCC0BE6
	v_cvt_f32_i32_e32 v231, v231                               // 0000000086D8: 7FCE0BE7
	v_pk_fma_f32 v[84:85], v[228:229], v[234:235], v[84:85]    // 0000000086DC: D3B04054 1D53D5E4
	v_pk_fma_f32 v[86:87], v[230:231], v[234:235], v[86:87]    // 0000000086E4: D3B04056 1D5BD5E6
	v_mfma_i32_16x16x32_i8 v[228:231], a[112:113], v[176:177], 0// 0000000086EC: D3D700E4 0A036170
	buffer_load_dwordx4 a[56:59], v37, s[24:27], 0 offen offset:2048// 0000000086F4: E05C1800 80863825
	v_mfma_i32_16x16x32_i8 v[228:231], a[114:115], v[178:179], v[228:231]// 0000000086FC: D3D700E4 0F936572
	ds_read_b64 v[208:209], v12 offset:6144                    // 000000008704: D8EC1800 D000000C
	ds_read_b64 v[210:211], v12 offset:6272                    // 00000000870C: D8EC1880 D200000C
	v_mfma_i32_16x16x32_i8 v[228:231], a[116:117], v[180:181], v[228:231]// 000000008714: D3D700E4 0F936974
	v_mfma_i32_16x16x32_i8 v[228:231], a[118:119], v[182:183], v[228:231]// 00000000871C: D3D700E4 0F936D76
	ds_read_b64 v[212:213], v12 offset:7168                    // 000000008724: D8EC1C00 D400000C
	ds_read_b64 v[214:215], v12 offset:7296                    // 00000000872C: D8EC1C80 D600000C
	v_mfma_i32_16x16x32_i8 v[228:231], a[120:121], v[184:185], v[228:231]// 000000008734: D3D700E4 0F937178
	buffer_load_dwordx4 a[60:63], v37, s[24:27], 0 offen offset:3072// 00000000873C: E05C1C00 80863C25
	v_mfma_i32_16x16x32_i8 v[228:231], a[122:123], v[186:187], v[228:231]// 000000008744: D3D700E4 0F93757A
	ds_read_b64 v[216:217], v12 offset:8192                    // 00000000874C: D8EC2000 D800000C
	ds_read_b64 v[218:219], v12 offset:8320                    // 000000008754: D8EC2080 DA00000C
	v_mfma_i32_16x16x32_i8 v[228:231], a[124:125], v[188:189], v[228:231]// 00000000875C: D3D700E4 0F93797C
	v_mfma_i32_16x16x32_i8 v[228:231], a[126:127], v[190:191], v[228:231]// 000000008764: D3D700E4 0F937D7E
	ds_read_b64 v[220:221], v12 offset:9216                    // 00000000876C: D8EC2400 DC00000C
	ds_read_b64 v[222:223], v12 offset:9344                    // 000000008774: D8EC2480 DE00000C
	v_cvt_f32_i32_e32 v224, v224                               // 00000000877C: 7FC00BE0
	v_cvt_f32_i32_e32 v225, v225                               // 000000008780: 7FC20BE1
	v_cvt_f32_i32_e32 v226, v226                               // 000000008784: 7FC40BE2
	v_cvt_f32_i32_e32 v227, v227                               // 000000008788: 7FC60BE3
	v_pk_fma_f32 v[88:89], v[224:225], v[232:233], v[88:89]    // 00000000878C: D3B04058 1D63D1E0
	v_pk_fma_f32 v[90:91], v[226:227], v[232:233], v[90:91]    // 000000008794: D3B0405A 1D6BD1E2
	v_cvt_f32_i32_e32 v228, v228                               // 00000000879C: 7FC80BE4
	v_cvt_f32_i32_e32 v229, v229                               // 0000000087A0: 7FCA0BE5
	v_cvt_f32_i32_e32 v230, v230                               // 0000000087A4: 7FCC0BE6
	v_cvt_f32_i32_e32 v231, v231                               // 0000000087A8: 7FCE0BE7
	v_pk_fma_f32 v[92:93], v[228:229], v[234:235], v[92:93]    // 0000000087AC: D3B0405C 1D73D5E4
	v_pk_fma_f32 v[94:95], v[230:231], v[234:235], v[94:95]    // 0000000087B4: D3B0405E 1D7BD5E6
	s_add_u32 s60, 0x200, s80                                  // 0000000087BC: 803C50FF 00000200
	s_cmp_lt_u32 s60, s81                                      // 0000000087C4: BF0A513C
	s_cselect_b32 s57, s57, 0                                  // 0000000087C8: 85398039
	s_cselect_b32 s91, s91, 0                                  // 0000000087CC: 855B805B
	s_add_u32 s60, 0x200, s80                                  // 0000000087D0: 803C50FF 00000200
	s_cmp_lt_u32 s60, s81                                      // 0000000087D8: BF0A513C
	s_cselect_b32 s58, s58, 0                                  // 0000000087DC: 853A803A
	s_add_u32 s20, s57, s20                                    // 0000000087E0: 80141439
	s_addc_u32 s21, 0, s21                                     // 0000000087E4: 82151580
	s_add_u32 s28, s91, s28                                    // 0000000087E8: 801C1C5B
	s_addc_u32 s29, 0, s29                                     // 0000000087EC: 821D1D80
	s_add_u32 s24, s58, s24                                    // 0000000087F0: 8018183A
	s_addc_u32 s25, 0, s25                                     // 0000000087F4: 82191980
	s_add_u32 s92, s90, s92                                    // 0000000087F8: 805C5C5A
	s_addc_u32 s93, 0, s93                                     // 0000000087FC: 825D5D80
	s_addk_i32 s80, 0x100                                      // 000000008800: B7500100
	s_cmp_lt_i32 s80, s81                                      // 000000008804: BF045150
	s_cbranch_scc0 label_1A34                                  // 000000008808: BF8403B1
	v_mov_b32_e32 v232, v24                                    // 00000000880C: 7FD00318
	v_mov_b32_e32 v234, v25                                    // 000000008810: 7FD40319
	v_mov_b32_e32 v233, v232                                   // 000000008814: 7FD203E8
	v_mov_b32_e32 v235, v234                                   // 000000008818: 7FD603EA
	s_waitcnt vmcnt(8) lgkmcnt(0)                              // 00000000881C: BF8C0078
	s_barrier                                                  // 000000008820: BF8A0000
	v_mfma_i32_16x16x32_i8 v[224:227], a[0:1], v[192:193], 0   // 000000008824: D3D700E0 0A038100
	buffer_load_dwordx4 a[64:67], v34, s[92:95], 0 offen       // 00000000882C: E05C1000 80974022
	v_mfma_i32_16x16x32_i8 v[224:227], a[2:3], v[194:195], v[224:227]// 000000008834: D3D700E0 0F838502
	v_mfma_i32_16x16x32_i8 v[224:227], a[4:5], v[196:197], v[224:227]// 00000000883C: D3D700E0 0F838904
	buffer_load_dword v26, s[20:23], 0 offen lds               // 000000008844: E0511000 8005001A
	buffer_load_dword v26, s[20:23], 0 offen offset:256 lds    // 00000000884C: E0511100 8005001A
	s_add_u32 m0, 0x820, s50                                   // 000000008854: 807C32FF 00000820
	v_mfma_i32_16x16x32_i8 v[224:227], a[6:7], v[198:199], v[224:227]// 00000000885C: D3D700E0 0F838D06
	v_mfma_i32_16x16x32_i8 v[224:227], a[8:9], v[200:201], v[224:227]// 000000008864: D3D700E0 0F839108
	buffer_load_dwordx4 a[68:71], v34, s[92:95], 0 offen offset:1024// 00000000886C: E05C1400 80974422
	v_mfma_i32_16x16x32_i8 v[224:227], a[10:11], v[202:203], v[224:227]// 000000008874: D3D700E0 0F83950A
	v_mfma_i32_16x16x32_i8 v[224:227], a[12:13], v[204:205], v[224:227]// 00000000887C: D3D700E0 0F83990C
	buffer_load_dword v27, s[20:23], 0 offen lds               // 000000008884: E0511000 8005001B
	buffer_load_dword v27, s[20:23], 0 offen offset:256 lds    // 00000000888C: E0511100 8005001B
	s_add_u32 m0, 0x1040, s50                                  // 000000008894: 807C32FF 00001040
	v_mfma_i32_16x16x32_i8 v[224:227], a[14:15], v[206:207], v[224:227]// 00000000889C: D3D700E0 0F839D0E
	v_mfma_i32_16x16x32_i8 v[228:231], a[0:1], v[208:209], 0   // 0000000088A4: D3D700E4 0A03A100
	buffer_load_dwordx4 a[72:75], v34, s[92:95], 0 offen offset:2048// 0000000088AC: E05C1800 80974822
	v_mfma_i32_16x16x32_i8 v[228:231], a[2:3], v[210:211], v[228:231]// 0000000088B4: D3D700E4 0F93A502
	v_mfma_i32_16x16x32_i8 v[228:231], a[4:5], v[212:213], v[228:231]// 0000000088BC: D3D700E4 0F93A904
	buffer_load_dword v28, s[20:23], 0 offen lds               // 0000000088C4: E0511000 8005001C
	buffer_load_dword v28, s[20:23], 0 offen offset:256 lds    // 0000000088CC: E0511100 8005001C
	s_add_u32 m0, 0x1860, s50                                  // 0000000088D4: 807C32FF 00001860
	v_mfma_i32_16x16x32_i8 v[228:231], a[6:7], v[214:215], v[228:231]// 0000000088DC: D3D700E4 0F93AD06
	v_mfma_i32_16x16x32_i8 v[228:231], a[8:9], v[216:217], v[228:231]// 0000000088E4: D3D700E4 0F93B108
	buffer_load_dwordx4 a[76:79], v34, s[92:95], 0 offen offset:3072// 0000000088EC: E05C1C00 80974C22
	v_mfma_i32_16x16x32_i8 v[228:231], a[10:11], v[218:219], v[228:231]// 0000000088F4: D3D700E4 0F93B50A
	v_mfma_i32_16x16x32_i8 v[228:231], a[12:13], v[220:221], v[228:231]// 0000000088FC: D3D700E4 0F93B90C
	buffer_load_dword v29, s[20:23], 0 offen lds               // 000000008904: E0511000 8005001D
	buffer_load_dword v29, s[20:23], 0 offen offset:256 lds    // 00000000890C: E0511100 8005001D
	s_add_u32 m0, 0x2080, s50                                  // 000000008914: 807C32FF 00002080
	v_mfma_i32_16x16x32_i8 v[228:231], a[14:15], v[222:223], v[228:231]// 00000000891C: D3D700E4 0F93BD0E
	v_cvt_f32_i32_e32 v224, v224                               // 000000008924: 7FC00BE0
	v_cvt_f32_i32_e32 v225, v225                               // 000000008928: 7FC20BE1
	v_cvt_f32_i32_e32 v226, v226                               // 00000000892C: 7FC40BE2
	v_cvt_f32_i32_e32 v227, v227                               // 000000008930: 7FC60BE3
	v_pk_fma_f32 v[128:129], v[224:225], v[232:233], v[128:129]// 000000008934: D3B04080 1E03D1E0
	v_pk_fma_f32 v[130:131], v[226:227], v[232:233], v[130:131]// 00000000893C: D3B04082 1E0BD1E2
	v_mfma_i32_16x16x32_i8 v[224:227], a[16:17], v[192:193], 0 // 000000008944: D3D700E0 0A038110
	buffer_load_dwordx4 a[80:83], v35, s[92:95], 0 offen       // 00000000894C: E05C1000 80975023
	v_mfma_i32_16x16x32_i8 v[224:227], a[18:19], v[194:195], v[224:227]// 000000008954: D3D700E0 0F838512
	v_mfma_i32_16x16x32_i8 v[224:227], a[20:21], v[196:197], v[224:227]// 00000000895C: D3D700E0 0F838914
	buffer_load_dword v30, s[20:23], 0 offen lds               // 000000008964: E0511000 8005001E
	buffer_load_dword v30, s[20:23], 0 offen offset:256 lds    // 00000000896C: E0511100 8005001E
	s_add_u32 m0, 0x28a0, s50                                  // 000000008974: 807C32FF 000028A0
	v_mfma_i32_16x16x32_i8 v[224:227], a[22:23], v[198:199], v[224:227]// 00000000897C: D3D700E0 0F838D16
	v_mfma_i32_16x16x32_i8 v[224:227], a[24:25], v[200:201], v[224:227]// 000000008984: D3D700E0 0F839118
	buffer_load_dwordx4 a[84:87], v35, s[92:95], 0 offen offset:1024// 00000000898C: E05C1400 80975423
	v_mfma_i32_16x16x32_i8 v[224:227], a[26:27], v[202:203], v[224:227]// 000000008994: D3D700E0 0F83951A
	v_mfma_i32_16x16x32_i8 v[224:227], a[28:29], v[204:205], v[224:227]// 00000000899C: D3D700E0 0F83991C
	buffer_load_dword v31, s[20:23], 0 offen lds               // 0000000089A4: E0511000 8005001F
	buffer_load_dword v31, s[20:23], 0 offen offset:256 lds    // 0000000089AC: E0511100 8005001F
	s_add_u32 m0, 0x30c0, s50                                  // 0000000089B4: 807C32FF 000030C0
	v_mfma_i32_16x16x32_i8 v[224:227], a[30:31], v[206:207], v[224:227]// 0000000089BC: D3D700E0 0F839D1E
	v_cvt_f32_i32_e32 v228, v228                               // 0000000089C4: 7FC80BE4
	v_cvt_f32_i32_e32 v229, v229                               // 0000000089C8: 7FCA0BE5
	v_cvt_f32_i32_e32 v230, v230                               // 0000000089CC: 7FCC0BE6
	v_cvt_f32_i32_e32 v231, v231                               // 0000000089D0: 7FCE0BE7
	v_pk_fma_f32 v[132:133], v[228:229], v[234:235], v[132:133]// 0000000089D4: D3B04084 1E13D5E4
	v_pk_fma_f32 v[134:135], v[230:231], v[234:235], v[134:135]// 0000000089DC: D3B04086 1E1BD5E6
	v_mfma_i32_16x16x32_i8 v[228:231], a[16:17], v[208:209], 0 // 0000000089E4: D3D700E4 0A03A110
	buffer_load_dwordx4 a[88:91], v35, s[92:95], 0 offen offset:2048// 0000000089EC: E05C1800 80975823
	v_mfma_i32_16x16x32_i8 v[228:231], a[18:19], v[210:211], v[228:231]// 0000000089F4: D3D700E4 0F93A512
	v_mfma_i32_16x16x32_i8 v[228:231], a[20:21], v[212:213], v[228:231]// 0000000089FC: D3D700E4 0F93A914
	buffer_load_dword v32, s[20:23], 0 offen lds               // 000000008A04: E0511000 80050020
	buffer_load_dword v32, s[20:23], 0 offen offset:256 lds    // 000000008A0C: E0511100 80050020
	s_add_u32 m0, 0x38e0, s50                                  // 000000008A14: 807C32FF 000038E0
	v_mfma_i32_16x16x32_i8 v[228:231], a[22:23], v[214:215], v[228:231]// 000000008A1C: D3D700E4 0F93AD16
	v_mfma_i32_16x16x32_i8 v[228:231], a[24:25], v[216:217], v[228:231]// 000000008A24: D3D700E4 0F93B118
	buffer_load_dwordx4 a[92:95], v35, s[92:95], 0 offen offset:3072// 000000008A2C: E05C1C00 80975C23
	v_mfma_i32_16x16x32_i8 v[228:231], a[26:27], v[218:219], v[228:231]// 000000008A34: D3D700E4 0F93B51A
	v_mfma_i32_16x16x32_i8 v[228:231], a[28:29], v[220:221], v[228:231]// 000000008A3C: D3D700E4 0F93B91C
	buffer_load_dword v33, s[20:23], 0 offen lds               // 000000008A44: E0511000 80050021
	buffer_load_dword v33, s[20:23], 0 offen offset:256 lds    // 000000008A4C: E0511100 80050021
	s_add_u32 m0, 0, s51                                       // 000000008A54: 807C3380
	v_mfma_i32_16x16x32_i8 v[228:231], a[30:31], v[222:223], v[228:231]// 000000008A58: D3D700E4 0F93BD1E
	buffer_load_dword v13, v6, s[28:31], 0 offen               // 000000008A60: E0501000 80070D06
	v_cvt_f32_i32_e32 v224, v224                               // 000000008A68: 7FC00BE0
	v_cvt_f32_i32_e32 v225, v225                               // 000000008A6C: 7FC20BE1
	v_cvt_f32_i32_e32 v226, v226                               // 000000008A70: 7FC40BE2
	v_cvt_f32_i32_e32 v227, v227                               // 000000008A74: 7FC60BE3
	v_pk_fma_f32 v[136:137], v[224:225], v[232:233], v[136:137]// 000000008A78: D3B04088 1E23D1E0
	v_pk_fma_f32 v[138:139], v[226:227], v[232:233], v[138:139]// 000000008A80: D3B0408A 1E2BD1E2
	s_waitcnt vmcnt(29)                                        // 000000008A88: BF8C4F7D
	v_mfma_i32_16x16x32_i8 v[224:227], a[32:33], v[192:193], 0 // 000000008A8C: D3D700E0 0A038120
	buffer_load_dwordx4 a[96:99], v36, s[92:95], 0 offen       // 000000008A94: E05C1000 80976024
	v_mfma_i32_16x16x32_i8 v[224:227], a[34:35], v[194:195], v[224:227]// 000000008A9C: D3D700E0 0F838522
	v_mfma_i32_16x16x32_i8 v[224:227], a[36:37], v[196:197], v[224:227]// 000000008AA4: D3D700E0 0F838924
	v_mfma_i32_16x16x32_i8 v[224:227], a[38:39], v[198:199], v[224:227]// 000000008AAC: D3D700E0 0F838D26
	v_mfma_i32_16x16x32_i8 v[224:227], a[40:41], v[200:201], v[224:227]// 000000008AB4: D3D700E0 0F839128
	buffer_load_dwordx4 a[100:103], v36, s[92:95], 0 offen offset:1024// 000000008ABC: E05C1400 80976424
	v_mfma_i32_16x16x32_i8 v[224:227], a[42:43], v[202:203], v[224:227]// 000000008AC4: D3D700E0 0F83952A
	v_mfma_i32_16x16x32_i8 v[224:227], a[44:45], v[204:205], v[224:227]// 000000008ACC: D3D700E0 0F83992C
	v_mfma_i32_16x16x32_i8 v[224:227], a[46:47], v[206:207], v[224:227]// 000000008AD4: D3D700E0 0F839D2E
	v_cvt_f32_i32_e32 v228, v228                               // 000000008ADC: 7FC80BE4
	v_cvt_f32_i32_e32 v229, v229                               // 000000008AE0: 7FCA0BE5
	v_cvt_f32_i32_e32 v230, v230                               // 000000008AE4: 7FCC0BE6
	v_cvt_f32_i32_e32 v231, v231                               // 000000008AE8: 7FCE0BE7
	v_pk_fma_f32 v[140:141], v[228:229], v[234:235], v[140:141]// 000000008AEC: D3B0408C 1E33D5E4
	v_pk_fma_f32 v[142:143], v[230:231], v[234:235], v[142:143]// 000000008AF4: D3B0408E 1E3BD5E6
	v_mfma_i32_16x16x32_i8 v[228:231], a[32:33], v[208:209], 0 // 000000008AFC: D3D700E4 0A03A120
	buffer_load_dwordx4 a[104:107], v36, s[92:95], 0 offen offset:2048// 000000008B04: E05C1800 80976824
	v_mfma_i32_16x16x32_i8 v[228:231], a[34:35], v[210:211], v[228:231]// 000000008B0C: D3D700E4 0F93A522
	v_mfma_i32_16x16x32_i8 v[228:231], a[36:37], v[212:213], v[228:231]// 000000008B14: D3D700E4 0F93A924
	v_mfma_i32_16x16x32_i8 v[228:231], a[38:39], v[214:215], v[228:231]// 000000008B1C: D3D700E4 0F93AD26
	v_mfma_i32_16x16x32_i8 v[228:231], a[40:41], v[216:217], v[228:231]// 000000008B24: D3D700E4 0F93B128
	buffer_load_dwordx4 a[108:111], v36, s[92:95], 0 offen offset:3072// 000000008B2C: E05C1C00 80976C24
	v_mfma_i32_16x16x32_i8 v[228:231], a[42:43], v[218:219], v[228:231]// 000000008B34: D3D700E4 0F93B52A
	v_mfma_i32_16x16x32_i8 v[228:231], a[44:45], v[220:221], v[228:231]// 000000008B3C: D3D700E4 0F93B92C
	v_mfma_i32_16x16x32_i8 v[228:231], a[46:47], v[222:223], v[228:231]// 000000008B44: D3D700E4 0F93BD2E
	v_cvt_f32_i32_e32 v224, v224                               // 000000008B4C: 7FC00BE0
	v_cvt_f32_i32_e32 v225, v225                               // 000000008B50: 7FC20BE1
	v_cvt_f32_i32_e32 v226, v226                               // 000000008B54: 7FC40BE2
	v_cvt_f32_i32_e32 v227, v227                               // 000000008B58: 7FC60BE3
	v_pk_fma_f32 v[144:145], v[224:225], v[232:233], v[144:145]// 000000008B5C: D3B04090 1E43D1E0
	v_pk_fma_f32 v[146:147], v[226:227], v[232:233], v[146:147]// 000000008B64: D3B04092 1E4BD1E2
	s_waitcnt vmcnt(29)                                        // 000000008B6C: BF8C4F7D
	v_mfma_i32_16x16x32_i8 v[224:227], a[48:49], v[192:193], 0 // 000000008B70: D3D700E0 0A038130
	buffer_load_dwordx4 a[112:115], v37, s[92:95], 0 offen     // 000000008B78: E05C1000 80977025
	v_mfma_i32_16x16x32_i8 v[224:227], a[50:51], v[194:195], v[224:227]// 000000008B80: D3D700E0 0F838532
	v_mfma_i32_16x16x32_i8 v[224:227], a[52:53], v[196:197], v[224:227]// 000000008B88: D3D700E0 0F838934
	v_mfma_i32_16x16x32_i8 v[224:227], a[54:55], v[198:199], v[224:227]// 000000008B90: D3D700E0 0F838D36
	v_mfma_i32_16x16x32_i8 v[224:227], a[56:57], v[200:201], v[224:227]// 000000008B98: D3D700E0 0F839138
	buffer_load_dwordx4 a[116:119], v37, s[92:95], 0 offen offset:1024// 000000008BA0: E05C1400 80977425
	v_mfma_i32_16x16x32_i8 v[224:227], a[58:59], v[202:203], v[224:227]// 000000008BA8: D3D700E0 0F83953A
	v_mfma_i32_16x16x32_i8 v[224:227], a[60:61], v[204:205], v[224:227]// 000000008BB0: D3D700E0 0F83993C
	v_mfma_i32_16x16x32_i8 v[224:227], a[62:63], v[206:207], v[224:227]// 000000008BB8: D3D700E0 0F839D3E
	v_cvt_f32_i32_e32 v228, v228                               // 000000008BC0: 7FC80BE4
	v_cvt_f32_i32_e32 v229, v229                               // 000000008BC4: 7FCA0BE5
	v_cvt_f32_i32_e32 v230, v230                               // 000000008BC8: 7FCC0BE6
	v_cvt_f32_i32_e32 v231, v231                               // 000000008BCC: 7FCE0BE7
	v_pk_fma_f32 v[148:149], v[228:229], v[234:235], v[148:149]// 000000008BD0: D3B04094 1E53D5E4
	v_pk_fma_f32 v[150:151], v[230:231], v[234:235], v[150:151]// 000000008BD8: D3B04096 1E5BD5E6
	v_mfma_i32_16x16x32_i8 v[228:231], a[48:49], v[208:209], 0 // 000000008BE0: D3D700E4 0A03A130
	buffer_load_dwordx4 a[120:123], v37, s[92:95], 0 offen offset:2048// 000000008BE8: E05C1800 80977825
	v_mfma_i32_16x16x32_i8 v[228:231], a[50:51], v[210:211], v[228:231]// 000000008BF0: D3D700E4 0F93A532
	v_mfma_i32_16x16x32_i8 v[228:231], a[52:53], v[212:213], v[228:231]// 000000008BF8: D3D700E4 0F93A934
	v_mfma_i32_16x16x32_i8 v[228:231], a[54:55], v[214:215], v[228:231]// 000000008C00: D3D700E4 0F93AD36
	v_mfma_i32_16x16x32_i8 v[228:231], a[56:57], v[216:217], v[228:231]// 000000008C08: D3D700E4 0F93B138
	buffer_load_dwordx4 a[124:127], v37, s[92:95], 0 offen offset:3072// 000000008C10: E05C1C00 80977C25
	v_mfma_i32_16x16x32_i8 v[228:231], a[58:59], v[218:219], v[228:231]// 000000008C18: D3D700E4 0F93B53A
	v_mfma_i32_16x16x32_i8 v[228:231], a[60:61], v[220:221], v[228:231]// 000000008C20: D3D700E4 0F93B93C
	v_mfma_i32_16x16x32_i8 v[228:231], a[62:63], v[222:223], v[228:231]// 000000008C28: D3D700E4 0F93BD3E
	v_cvt_f32_i32_e32 v224, v224                               // 000000008C30: 7FC00BE0
	v_cvt_f32_i32_e32 v225, v225                               // 000000008C34: 7FC20BE1
	v_cvt_f32_i32_e32 v226, v226                               // 000000008C38: 7FC40BE2
	v_cvt_f32_i32_e32 v227, v227                               // 000000008C3C: 7FC60BE3
	v_pk_fma_f32 v[152:153], v[224:225], v[232:233], v[152:153]// 000000008C40: D3B04098 1E63D1E0
	v_pk_fma_f32 v[154:155], v[226:227], v[232:233], v[154:155]// 000000008C48: D3B0409A 1E6BD1E2
	v_cvt_f32_i32_e32 v228, v228                               // 000000008C50: 7FC80BE4
	v_cvt_f32_i32_e32 v229, v229                               // 000000008C54: 7FCA0BE5
	v_cvt_f32_i32_e32 v230, v230                               // 000000008C58: 7FCC0BE6
	v_cvt_f32_i32_e32 v231, v231                               // 000000008C5C: 7FCE0BE7
	v_pk_fma_f32 v[156:157], v[228:229], v[234:235], v[156:157]// 000000008C60: D3B0409C 1E73D5E4
	v_pk_fma_f32 v[158:159], v[230:231], v[234:235], v[158:159]// 000000008C68: D3B0409E 1E7BD5E6
	s_waitcnt vmcnt(8)                                         // 000000008C70: BF8C0F78
	s_barrier                                                  // 000000008C74: BF8A0000
	v_mfma_i32_16x16x32_i8 v[224:227], a[64:65], v[192:193], 0 // 000000008C78: D3D700E0 0A038140
	buffer_load_dwordx4 a[0:3], v34, s[24:27], 0 offen         // 000000008C80: E05C1000 80860022
	v_mfma_i32_16x16x32_i8 v[224:227], a[66:67], v[194:195], v[224:227]// 000000008C88: D3D700E0 0F838542
	ds_read_b64 v[160:161], v2 offset:2048                     // 000000008C90: D8EC0800 A0000002
	ds_read_b64 v[164:165], v2 offset:10368                    // 000000008C98: D8EC2880 A4000002
	v_mfma_i32_16x16x32_i8 v[224:227], a[68:69], v[196:197], v[224:227]// 000000008CA0: D3D700E0 0F838944
	v_mfma_i32_16x16x32_i8 v[224:227], a[70:71], v[198:199], v[224:227]// 000000008CA8: D3D700E0 0F838D46
	ds_read_b64 v[168:169], v2 offset:2176                     // 000000008CB0: D8EC0880 A8000002
	ds_read_b64 v[172:173], v2 offset:10496                    // 000000008CB8: D8EC2900 AC000002
	v_mfma_i32_16x16x32_i8 v[224:227], a[72:73], v[200:201], v[224:227]// 000000008CC0: D3D700E0 0F839148
	buffer_load_dwordx4 a[4:7], v34, s[24:27], 0 offen offset:1024// 000000008CC8: E05C1400 80860422
	v_mfma_i32_16x16x32_i8 v[224:227], a[74:75], v[202:203], v[224:227]// 000000008CD0: D3D700E0 0F83954A
	ds_read_b64 v[176:177], v2 offset:2304                     // 000000008CD8: D8EC0900 B0000002
	ds_read_b64 v[180:181], v2 offset:10624                    // 000000008CE0: D8EC2980 B4000002
	v_mfma_i32_16x16x32_i8 v[224:227], a[76:77], v[204:205], v[224:227]// 000000008CE8: D3D700E0 0F83994C
	v_mfma_i32_16x16x32_i8 v[224:227], a[78:79], v[206:207], v[224:227]// 000000008CF0: D3D700E0 0F839D4E
	ds_read_b64 v[184:185], v2 offset:2432                     // 000000008CF8: D8EC0980 B8000002
	ds_read_b64 v[188:189], v2 offset:10752                    // 000000008D00: D8EC2A00 BC000002
	s_waitcnt lgkmcnt(4)                                       // 000000008D08: BF8CC47F
	v_and_b32_e32 v163, 0xffff0000, v161                       // 000000008D0C: 274742FF FFFF0000
	v_lshlrev_b32_e32 v162, 16, v161                           // 000000008D14: 25454290
	v_and_b32_e32 v161, 0xffff0000, v160                       // 000000008D18: 274340FF FFFF0000
	v_lshlrev_b32_e32 v160, 16, v160                           // 000000008D20: 25414090
	v_and_b32_e32 v167, 0xffff0000, v165                       // 000000008D24: 274F4AFF FFFF0000
	v_lshlrev_b32_e32 v166, 16, v165                           // 000000008D2C: 254D4A90
	v_and_b32_e32 v165, 0xffff0000, v164                       // 000000008D30: 274B48FF FFFF0000
	v_lshlrev_b32_e32 v164, 16, v164                           // 000000008D38: 25494890
	v_and_b32_e32 v171, 0xffff0000, v169                       // 000000008D3C: 275752FF FFFF0000
	v_lshlrev_b32_e32 v170, 16, v169                           // 000000008D44: 25555290
	v_and_b32_e32 v169, 0xffff0000, v168                       // 000000008D48: 275350FF FFFF0000
	v_lshlrev_b32_e32 v168, 16, v168                           // 000000008D50: 25515090
	v_and_b32_e32 v175, 0xffff0000, v173                       // 000000008D54: 275F5AFF FFFF0000
	v_lshlrev_b32_e32 v174, 16, v173                           // 000000008D5C: 255D5A90
	v_and_b32_e32 v173, 0xffff0000, v172                       // 000000008D60: 275B58FF FFFF0000
	v_lshlrev_b32_e32 v172, 16, v172                           // 000000008D68: 25595890
	v_mul_f32_dpp v160, v13, v160 row_newbcast:0 row_mask:0xf bank_mask:0xf// 000000008D6C: 0B4140FA FF01500D
	v_mul_f32_dpp v161, v13, v161 row_newbcast:1 row_mask:0xf bank_mask:0xf// 000000008D74: 0B4342FA FF01510D
	v_mul_f32_dpp v162, v13, v162 row_newbcast:2 row_mask:0xf bank_mask:0xf// 000000008D7C: 0B4544FA FF01520D
	v_mul_f32_dpp v163, v13, v163 row_newbcast:3 row_mask:0xf bank_mask:0xf// 000000008D84: 0B4746FA FF01530D
	v_mul_f32_dpp v164, v13, v164 row_newbcast:0 row_mask:0xf bank_mask:0xf// 000000008D8C: 0B4948FA FF01500D
	v_mul_f32_dpp v165, v13, v165 row_newbcast:1 row_mask:0xf bank_mask:0xf// 000000008D94: 0B4B4AFA FF01510D
	v_mul_f32_dpp v166, v13, v166 row_newbcast:2 row_mask:0xf bank_mask:0xf// 000000008D9C: 0B4D4CFA FF01520D
	v_mul_f32_dpp v167, v13, v167 row_newbcast:3 row_mask:0xf bank_mask:0xf// 000000008DA4: 0B4F4EFA FF01530D
	v_mul_f32_dpp v168, v13, v168 row_newbcast:4 row_mask:0xf bank_mask:0xf// 000000008DAC: 0B5150FA FF01540D
	v_mul_f32_dpp v169, v13, v169 row_newbcast:5 row_mask:0xf bank_mask:0xf// 000000008DB4: 0B5352FA FF01550D
	v_mul_f32_dpp v170, v13, v170 row_newbcast:6 row_mask:0xf bank_mask:0xf// 000000008DBC: 0B5554FA FF01560D
	v_mul_f32_dpp v171, v13, v171 row_newbcast:7 row_mask:0xf bank_mask:0xf// 000000008DC4: 0B5756FA FF01570D
	v_mul_f32_dpp v172, v13, v172 row_newbcast:4 row_mask:0xf bank_mask:0xf// 000000008DCC: 0B5958FA FF01540D
	v_mul_f32_dpp v173, v13, v173 row_newbcast:5 row_mask:0xf bank_mask:0xf// 000000008DD4: 0B5B5AFA FF01550D
	v_mul_f32_dpp v174, v13, v174 row_newbcast:6 row_mask:0xf bank_mask:0xf// 000000008DDC: 0B5D5CFA FF01560D
	v_mul_f32_dpp v175, v13, v175 row_newbcast:7 row_mask:0xf bank_mask:0xf// 000000008DE4: 0B5F5EFA FF01570D
	s_waitcnt lgkmcnt(0)                                       // 000000008DEC: BF8CC07F
	v_and_b32_e32 v179, 0xffff0000, v177                       // 000000008DF0: 276762FF FFFF0000
	v_lshlrev_b32_e32 v178, 16, v177                           // 000000008DF8: 25656290
	v_and_b32_e32 v177, 0xffff0000, v176                       // 000000008DFC: 276360FF FFFF0000
	v_lshlrev_b32_e32 v176, 16, v176                           // 000000008E04: 25616090
	v_and_b32_e32 v183, 0xffff0000, v181                       // 000000008E08: 276F6AFF FFFF0000
	v_lshlrev_b32_e32 v182, 16, v181                           // 000000008E10: 256D6A90
	v_and_b32_e32 v181, 0xffff0000, v180                       // 000000008E14: 276B68FF FFFF0000
	v_lshlrev_b32_e32 v180, 16, v180                           // 000000008E1C: 25696890
	v_and_b32_e32 v187, 0xffff0000, v185                       // 000000008E20: 277772FF FFFF0000
	v_lshlrev_b32_e32 v186, 16, v185                           // 000000008E28: 25757290
	v_and_b32_e32 v185, 0xffff0000, v184                       // 000000008E2C: 277370FF FFFF0000
	v_lshlrev_b32_e32 v184, 16, v184                           // 000000008E34: 25717090
	v_and_b32_e32 v191, 0xffff0000, v189                       // 000000008E38: 277F7AFF FFFF0000
	v_lshlrev_b32_e32 v190, 16, v189                           // 000000008E40: 257D7A90
	v_and_b32_e32 v189, 0xffff0000, v188                       // 000000008E44: 277B78FF FFFF0000
	v_lshlrev_b32_e32 v188, 16, v188                           // 000000008E4C: 25797890
	v_mul_f32_dpp v176, v13, v176 row_newbcast:8 row_mask:0xf bank_mask:0xf// 000000008E50: 0B6160FA FF01580D
	v_mul_f32_dpp v177, v13, v177 row_newbcast:9 row_mask:0xf bank_mask:0xf// 000000008E58: 0B6362FA FF01590D
	v_mul_f32_dpp v178, v13, v178 row_newbcast:10 row_mask:0xf bank_mask:0xf// 000000008E60: 0B6564FA FF015A0D
	v_mul_f32_dpp v179, v13, v179 row_newbcast:11 row_mask:0xf bank_mask:0xf// 000000008E68: 0B6766FA FF015B0D
	v_mul_f32_dpp v180, v13, v180 row_newbcast:8 row_mask:0xf bank_mask:0xf// 000000008E70: 0B6968FA FF01580D
	v_mul_f32_dpp v181, v13, v181 row_newbcast:9 row_mask:0xf bank_mask:0xf// 000000008E78: 0B6B6AFA FF01590D
	v_mul_f32_dpp v182, v13, v182 row_newbcast:10 row_mask:0xf bank_mask:0xf// 000000008E80: 0B6D6CFA FF015A0D
	v_mul_f32_dpp v183, v13, v183 row_newbcast:11 row_mask:0xf bank_mask:0xf// 000000008E88: 0B6F6EFA FF015B0D
	v_mul_f32_dpp v184, v13, v184 row_newbcast:12 row_mask:0xf bank_mask:0xf// 000000008E90: 0B7170FA FF015C0D
	v_mul_f32_dpp v185, v13, v185 row_newbcast:13 row_mask:0xf bank_mask:0xf// 000000008E98: 0B7372FA FF015D0D
	v_mul_f32_dpp v186, v13, v186 row_newbcast:14 row_mask:0xf bank_mask:0xf// 000000008EA0: 0B7574FA FF015E0D
	v_mul_f32_dpp v187, v13, v187 row_newbcast:15 row_mask:0xf bank_mask:0xf// 000000008EA8: 0B7776FA FF015F0D
	v_mul_f32_dpp v188, v13, v188 row_newbcast:12 row_mask:0xf bank_mask:0xf// 000000008EB0: 0B7978FA FF015C0D
	v_mul_f32_dpp v189, v13, v189 row_newbcast:13 row_mask:0xf bank_mask:0xf// 000000008EB8: 0B7B7AFA FF015D0D
	v_mul_f32_dpp v190, v13, v190 row_newbcast:14 row_mask:0xf bank_mask:0xf// 000000008EC0: 0B7D7CFA FF015E0D
	v_mul_f32_dpp v191, v13, v191 row_newbcast:15 row_mask:0xf bank_mask:0xf// 000000008EC8: 0B7F7EFA FF015F0D
	v_mfma_i32_16x16x32_i8 v[228:231], a[64:65], v[208:209], 0 // 000000008ED0: D3D700E4 0A03A140
	buffer_load_dwordx4 a[8:11], v34, s[24:27], 0 offen offset:2048// 000000008ED8: E05C1800 80860822
	v_mfma_i32_16x16x32_i8 v[228:231], a[66:67], v[210:211], v[228:231]// 000000008EE0: D3D700E4 0F93A542
	v_mov_b32_e32 v42, 0x358637bd                              // 000000008EE8: 7E5402FF 358637BD
	v_mov_b32_e32 v43, 0x358637bd                              // 000000008EF0: 7E5602FF 358637BD
	v_max3_f32 v42, |v160|, |v161|, v42                        // 000000008EF8: D1D3032A 04AB43A0
	v_max3_f32 v42, |v162|, |v163|, v42                        // 000000008F00: D1D3032A 04AB47A2
	v_max3_f32 v43, |v164|, |v165|, v43                        // 000000008F08: D1D3032B 04AF4BA4
	v_max3_f32 v43, |v166|, |v167|, v43                        // 000000008F10: D1D3032B 04AF4FA6
	v_max3_f32 v42, |v168|, |v169|, v42                        // 000000008F18: D1D3032A 04AB53A8
	v_max3_f32 v42, |v170|, |v171|, v42                        // 000000008F20: D1D3032A 04AB57AA
	v_max3_f32 v43, |v172|, |v173|, v43                        // 000000008F28: D1D3032B 04AF5BAC
	v_max3_f32 v43, |v174|, |v175|, v43                        // 000000008F30: D1D3032B 04AF5FAE
	v_max3_f32 v42, |v176|, |v177|, v42                        // 000000008F38: D1D3032A 04AB63B0
	v_max3_f32 v42, |v178|, |v179|, v42                        // 000000008F40: D1D3032A 04AB67B2
	v_max3_f32 v43, |v180|, |v181|, v43                        // 000000008F48: D1D3032B 04AF6BB4
	v_max3_f32 v43, |v182|, |v183|, v43                        // 000000008F50: D1D3032B 04AF6FB6
	v_max3_f32 v42, |v184|, |v185|, v42                        // 000000008F58: D1D3032A 04AB73B8
	v_max3_f32 v42, |v186|, |v187|, v42                        // 000000008F60: D1D3032A 04AB77BA
	v_max3_f32 v43, |v188|, |v189|, v43                        // 000000008F68: D1D3032B 04AF7BBC
	v_max3_f32 v43, |v190|, |v191|, v43                        // 000000008F70: D1D3032B 04AF7FBE
	v_mfma_i32_16x16x32_i8 v[228:231], a[68:69], v[212:213], v[228:231]// 000000008F78: D3D700E4 0F93A944
	v_mfma_i32_16x16x32_i8 v[228:231], a[70:71], v[214:215], v[228:231]// 000000008F80: D3D700E4 0F93AD46
	ds_write_b64 v3, v[42:43]                                  // 000000008F88: D89A0000 00002A03
	v_mfma_i32_16x16x32_i8 v[228:231], a[72:73], v[216:217], v[228:231]// 000000008F90: D3D700E4 0F93B148
	buffer_load_dwordx4 a[12:15], v34, s[24:27], 0 offen offset:3072// 000000008F98: E05C1C00 80860C22
	v_mfma_i32_16x16x32_i8 v[228:231], a[74:75], v[218:219], v[228:231]// 000000008FA0: D3D700E4 0F93B54A
	s_waitcnt lgkmcnt(0)                                       // 000000008FA8: BF8CC07F
	s_barrier                                                  // 000000008FAC: BF8A0000
	v_mfma_i32_16x16x32_i8 v[228:231], a[76:77], v[220:221], v[228:231]// 000000008FB0: D3D700E4 0F93B94C
	v_mfma_i32_16x16x32_i8 v[228:231], a[78:79], v[222:223], v[228:231]// 000000008FB8: D3D700E4 0F93BD4E
	ds_read_b64 v[42:43], v4                                   // 000000008FC0: D8EC0000 2A000004
	ds_read_b64 v[44:45], v4 offset:128                        // 000000008FC8: D8EC0080 2C000004
	v_cvt_f32_i32_e32 v224, v224                               // 000000008FD0: 7FC00BE0
	v_cvt_f32_i32_e32 v225, v225                               // 000000008FD4: 7FC20BE1
	v_cvt_f32_i32_e32 v226, v226                               // 000000008FD8: 7FC40BE2
	v_cvt_f32_i32_e32 v227, v227                               // 000000008FDC: 7FC60BE3
	v_pk_fma_f32 v[64:65], v[224:225], v[232:233], v[64:65]    // 000000008FE0: D3B04040 1D03D1E0
	v_pk_fma_f32 v[66:67], v[226:227], v[232:233], v[66:67]    // 000000008FE8: D3B04042 1D0BD1E2
	v_mfma_i32_16x16x32_i8 v[224:227], a[80:81], v[192:193], 0 // 000000008FF0: D3D700E0 0A038150
	buffer_load_dwordx4 a[16:19], v35, s[24:27], 0 offen       // 000000008FF8: E05C1000 80861023
	v_mfma_i32_16x16x32_i8 v[224:227], a[82:83], v[194:195], v[224:227]// 000000009000: D3D700E0 0F838552
	ds_read_b64 v[46:47], v4 offset:256                        // 000000009008: D8EC0100 2E000004
	ds_read_b64 v[48:49], v4 offset:384                        // 000000009010: D8EC0180 30000004
	v_mfma_i32_16x16x32_i8 v[224:227], a[84:85], v[196:197], v[224:227]// 000000009018: D3D700E0 0F838954
	v_mfma_i32_16x16x32_i8 v[224:227], a[86:87], v[198:199], v[224:227]// 000000009020: D3D700E0 0F838D56
	ds_read_b64 v[50:51], v4 offset:512                        // 000000009028: D8EC0200 32000004
	ds_read_b64 v[52:53], v4 offset:640                        // 000000009030: D8EC0280 34000004
	v_mfma_i32_16x16x32_i8 v[224:227], a[88:89], v[200:201], v[224:227]// 000000009038: D3D700E0 0F839158
	buffer_load_dwordx4 a[20:23], v35, s[24:27], 0 offen offset:1024// 000000009040: E05C1400 80861423
	v_mfma_i32_16x16x32_i8 v[224:227], a[90:91], v[202:203], v[224:227]// 000000009048: D3D700E0 0F83955A
	ds_read_b64 v[54:55], v4 offset:768                        // 000000009050: D8EC0300 36000004
	ds_read_b64 v[56:57], v4 offset:896                        // 000000009058: D8EC0380 38000004
	v_mfma_i32_16x16x32_i8 v[224:227], a[92:93], v[204:205], v[224:227]// 000000009060: D3D700E0 0F83995C
	v_mfma_i32_16x16x32_i8 v[224:227], a[94:95], v[206:207], v[224:227]// 000000009068: D3D700E0 0F839D5E
	s_waitcnt lgkmcnt(0)                                       // 000000009070: BF8CC07F
	v_mov_b32_e32 v20, 0x358637bd                              // 000000009074: 7E2802FF 358637BD
	v_mov_b32_e32 v21, 0x358637bd                              // 00000000907C: 7E2A02FF 358637BD
	v_max3_f32 v20, |v42|, |v44|, v20                          // 000000009084: D1D30314 0452592A
	v_max3_f32 v21, |v43|, |v45|, v21                          // 00000000908C: D1D30315 04565B2B
	v_max3_f32 v20, |v46|, |v48|, v20                          // 000000009094: D1D30314 0452612E
	v_max3_f32 v21, |v47|, |v49|, v21                          // 00000000909C: D1D30315 0456632F
	v_max3_f32 v20, |v50|, |v52|, v20                          // 0000000090A4: D1D30314 04526932
	v_max3_f32 v21, |v51|, |v53|, v21                          // 0000000090AC: D1D30315 04566B33
	v_max3_f32 v20, |v54|, |v56|, v20                          // 0000000090B4: D1D30314 04527136
	v_max3_f32 v21, |v55|, |v57|, v21                          // 0000000090BC: D1D30315 04567337
	v_cvt_f32_i32_e32 v228, v228                               // 0000000090C4: 7FC80BE4
	v_cvt_f32_i32_e32 v229, v229                               // 0000000090C8: 7FCA0BE5
	v_cvt_f32_i32_e32 v230, v230                               // 0000000090CC: 7FCC0BE6
	v_cvt_f32_i32_e32 v231, v231                               // 0000000090D0: 7FCE0BE7
	v_pk_fma_f32 v[68:69], v[228:229], v[234:235], v[68:69]    // 0000000090D4: D3B04044 1D13D5E4
	v_pk_fma_f32 v[70:71], v[230:231], v[234:235], v[70:71]    // 0000000090DC: D3B04046 1D1BD5E6
	v_mfma_i32_16x16x32_i8 v[228:231], a[80:81], v[208:209], 0 // 0000000090E4: D3D700E4 0A03A150
	buffer_load_dwordx4 a[24:27], v35, s[24:27], 0 offen offset:2048// 0000000090EC: E05C1800 80861823
	v_mfma_i32_16x16x32_i8 v[228:231], a[82:83], v[210:211], v[228:231]// 0000000090F4: D3D700E4 0F93A552
	ds_read_b64 v[42:43], v4 offset:1024                       // 0000000090FC: D8EC0400 2A000004
	ds_read_b64 v[44:45], v4 offset:1152                       // 000000009104: D8EC0480 2C000004
	v_mfma_i32_16x16x32_i8 v[228:231], a[84:85], v[212:213], v[228:231]// 00000000910C: D3D700E4 0F93A954
	v_mfma_i32_16x16x32_i8 v[228:231], a[86:87], v[214:215], v[228:231]// 000000009114: D3D700E4 0F93AD56
	ds_read_b64 v[46:47], v4 offset:1280                       // 00000000911C: D8EC0500 2E000004
	ds_read_b64 v[48:49], v4 offset:1408                       // 000000009124: D8EC0580 30000004
	v_mfma_i32_16x16x32_i8 v[228:231], a[88:89], v[216:217], v[228:231]// 00000000912C: D3D700E4 0F93B158
	buffer_load_dwordx4 a[28:31], v35, s[24:27], 0 offen offset:3072// 000000009134: E05C1C00 80861C23
	v_mfma_i32_16x16x32_i8 v[228:231], a[90:91], v[218:219], v[228:231]// 00000000913C: D3D700E4 0F93B55A
	ds_read_b64 v[50:51], v4 offset:1536                       // 000000009144: D8EC0600 32000004
	ds_read_b64 v[52:53], v4 offset:1664                       // 00000000914C: D8EC0680 34000004
	v_mfma_i32_16x16x32_i8 v[228:231], a[92:93], v[220:221], v[228:231]// 000000009154: D3D700E4 0F93B95C
	v_mfma_i32_16x16x32_i8 v[228:231], a[94:95], v[222:223], v[228:231]// 00000000915C: D3D700E4 0F93BD5E
	ds_read_b64 v[54:55], v4 offset:1792                       // 000000009164: D8EC0700 36000004
	ds_read_b64 v[56:57], v4 offset:1920                       // 00000000916C: D8EC0780 38000004
	v_cvt_f32_i32_e32 v224, v224                               // 000000009174: 7FC00BE0
	v_cvt_f32_i32_e32 v225, v225                               // 000000009178: 7FC20BE1
	v_cvt_f32_i32_e32 v226, v226                               // 00000000917C: 7FC40BE2
	v_cvt_f32_i32_e32 v227, v227                               // 000000009180: 7FC60BE3
	v_pk_fma_f32 v[72:73], v[224:225], v[232:233], v[72:73]    // 000000009184: D3B04048 1D23D1E0
	v_pk_fma_f32 v[74:75], v[226:227], v[232:233], v[74:75]    // 00000000918C: D3B0404A 1D2BD1E2
	s_waitcnt vmcnt(12)                                        // 000000009194: BF8C0F7C
	v_mfma_i32_16x16x32_i8 v[224:227], a[96:97], v[192:193], 0 // 000000009198: D3D700E0 0A038160
	buffer_load_dwordx4 a[32:35], v36, s[24:27], 0 offen       // 0000000091A0: E05C1000 80862024
	v_mfma_i32_16x16x32_i8 v[224:227], a[98:99], v[194:195], v[224:227]// 0000000091A8: D3D700E0 0F838562
	s_waitcnt lgkmcnt(0)                                       // 0000000091B0: BF8CC07F
	v_max3_f32 v20, |v42|, |v44|, v20                          // 0000000091B4: D1D30314 0452592A
	v_max3_f32 v21, |v43|, |v45|, v21                          // 0000000091BC: D1D30315 04565B2B
	v_max3_f32 v20, |v46|, |v48|, v20                          // 0000000091C4: D1D30314 0452612E
	v_max3_f32 v21, |v47|, |v49|, v21                          // 0000000091CC: D1D30315 0456632F
	v_max3_f32 v20, |v50|, |v52|, v20                          // 0000000091D4: D1D30314 04526932
	v_max3_f32 v21, |v51|, |v53|, v21                          // 0000000091DC: D1D30315 04566B33
	v_max3_f32 v20, |v54|, |v56|, v20                          // 0000000091E4: D1D30314 04527136
	v_max3_f32 v21, |v55|, |v57|, v21                          // 0000000091EC: D1D30315 04567337
	v_mov_b32_e32 v38, 0x42fe0000                              // 0000000091F4: 7E4C02FF 42FE0000
	v_rcp_f32_e32 v20, v20                                     // 0000000091FC: 7E284514
	v_rcp_f32_e32 v21, v21                                     // 000000009200: 7E2A4515
	s_nop 1                                                    // 000000009204: BF800001
	v_mul_f32_e32 v20, v38, v20                                // 000000009208: 0A282926
	v_mul_f32_e32 v21, v38, v21                                // 00000000920C: 0A2A2B26
	v_rcp_f32_e32 v22, v20                                     // 000000009210: 7E2C4514
	v_rcp_f32_e32 v23, v21                                     // 000000009214: 7E2E4515
	v_mov_b32_e32 v38, v20                                     // 000000009218: 7E4C0314
	v_mov_b32_e32 v39, v20                                     // 00000000921C: 7E4E0314
	v_mov_b32_e32 v40, v21                                     // 000000009220: 7E500315
	v_mov_b32_e32 v41, v21                                     // 000000009224: 7E520315
	v_pk_mul_f32 v[160:161], v[38:39], v[160:161]              // 000000009228: D3B140A0 18034126
	v_pk_mul_f32 v[162:163], v[38:39], v[162:163]              // 000000009230: D3B140A2 18034526
	v_cvt_i32_f32_e32 v160, v160                               // 000000009238: 7F4011A0
	v_cvt_i32_f32_e32 v161, v161                               // 00000000923C: 7F4211A1
	v_cvt_i32_f32_e32 v162, v162                               // 000000009240: 7F4411A2
	v_cvt_i32_f32_e32 v163, v163                               // 000000009244: 7F4611A3
	v_perm_b32 v160, v161, v160, s53                           // 000000009248: D1ED00A0 00D741A1
	v_perm_b32 v160, v162, v160, s54                           // 000000009250: D1ED00A0 00DB41A2
	v_perm_b32 v160, v163, v160, s55                           // 000000009258: D1ED00A0 00DF41A3
	v_pk_mul_f32 v[164:165], v[40:41], v[164:165]              // 000000009260: D3B140A4 18034928
	v_pk_mul_f32 v[166:167], v[40:41], v[166:167]              // 000000009268: D3B140A6 18034D28
	v_cvt_i32_f32_e32 v164, v164                               // 000000009270: 7F4811A4
	v_cvt_i32_f32_e32 v165, v165                               // 000000009274: 7F4A11A5
	v_cvt_i32_f32_e32 v166, v166                               // 000000009278: 7F4C11A6
	v_cvt_i32_f32_e32 v167, v167                               // 00000000927C: 7F4E11A7
	v_perm_b32 v161, v165, v164, s53                           // 000000009280: D1ED00A1 00D749A5
	v_perm_b32 v161, v166, v161, s54                           // 000000009288: D1ED00A1 00DB43A6
	v_perm_b32 v161, v167, v161, s55                           // 000000009290: D1ED00A1 00DF43A7
	v_pk_mul_f32 v[168:169], v[38:39], v[168:169]              // 000000009298: D3B140A8 18035126
	v_pk_mul_f32 v[170:171], v[38:39], v[170:171]              // 0000000092A0: D3B140AA 18035526
	v_cvt_i32_f32_e32 v168, v168                               // 0000000092A8: 7F5011A8
	v_cvt_i32_f32_e32 v169, v169                               // 0000000092AC: 7F5211A9
	v_cvt_i32_f32_e32 v170, v170                               // 0000000092B0: 7F5411AA
	v_cvt_i32_f32_e32 v171, v171                               // 0000000092B4: 7F5611AB
	v_perm_b32 v162, v169, v168, s53                           // 0000000092B8: D1ED00A2 00D751A9
	v_perm_b32 v162, v170, v162, s54                           // 0000000092C0: D1ED00A2 00DB45AA
	v_perm_b32 v162, v171, v162, s55                           // 0000000092C8: D1ED00A2 00DF45AB
	v_pk_mul_f32 v[172:173], v[40:41], v[172:173]              // 0000000092D0: D3B140AC 18035928
	v_pk_mul_f32 v[174:175], v[40:41], v[174:175]              // 0000000092D8: D3B140AE 18035D28
	v_cvt_i32_f32_e32 v172, v172                               // 0000000092E0: 7F5811AC
	v_cvt_i32_f32_e32 v173, v173                               // 0000000092E4: 7F5A11AD
	v_cvt_i32_f32_e32 v174, v174                               // 0000000092E8: 7F5C11AE
	v_cvt_i32_f32_e32 v175, v175                               // 0000000092EC: 7F5E11AF
	v_perm_b32 v163, v173, v172, s53                           // 0000000092F0: D1ED00A3 00D759AD
	v_perm_b32 v163, v174, v163, s54                           // 0000000092F8: D1ED00A3 00DB47AE
	v_perm_b32 v163, v175, v163, s55                           // 000000009300: D1ED00A3 00DF47AF
	v_pk_mul_f32 v[176:177], v[38:39], v[176:177]              // 000000009308: D3B140B0 18036126
	v_pk_mul_f32 v[178:179], v[38:39], v[178:179]              // 000000009310: D3B140B2 18036526
	v_cvt_i32_f32_e32 v176, v176                               // 000000009318: 7F6011B0
	v_cvt_i32_f32_e32 v177, v177                               // 00000000931C: 7F6211B1
	v_cvt_i32_f32_e32 v178, v178                               // 000000009320: 7F6411B2
	v_cvt_i32_f32_e32 v179, v179                               // 000000009324: 7F6611B3
	v_perm_b32 v164, v177, v176, s53                           // 000000009328: D1ED00A4 00D761B1
	v_perm_b32 v164, v178, v164, s54                           // 000000009330: D1ED00A4 00DB49B2
	v_perm_b32 v164, v179, v164, s55                           // 000000009338: D1ED00A4 00DF49B3
	v_pk_mul_f32 v[180:181], v[40:41], v[180:181]              // 000000009340: D3B140B4 18036928
	v_pk_mul_f32 v[182:183], v[40:41], v[182:183]              // 000000009348: D3B140B6 18036D28
	v_cvt_i32_f32_e32 v180, v180                               // 000000009350: 7F6811B4
	v_cvt_i32_f32_e32 v181, v181                               // 000000009354: 7F6A11B5
	v_cvt_i32_f32_e32 v182, v182                               // 000000009358: 7F6C11B6
	v_cvt_i32_f32_e32 v183, v183                               // 00000000935C: 7F6E11B7
	v_perm_b32 v165, v181, v180, s53                           // 000000009360: D1ED00A5 00D769B5
	v_perm_b32 v165, v182, v165, s54                           // 000000009368: D1ED00A5 00DB4BB6
	v_perm_b32 v165, v183, v165, s55                           // 000000009370: D1ED00A5 00DF4BB7
	v_pk_mul_f32 v[184:185], v[38:39], v[184:185]              // 000000009378: D3B140B8 18037126
	v_pk_mul_f32 v[186:187], v[38:39], v[186:187]              // 000000009380: D3B140BA 18037526
	v_cvt_i32_f32_e32 v184, v184                               // 000000009388: 7F7011B8
	v_cvt_i32_f32_e32 v185, v185                               // 00000000938C: 7F7211B9
	v_cvt_i32_f32_e32 v186, v186                               // 000000009390: 7F7411BA
	v_cvt_i32_f32_e32 v187, v187                               // 000000009394: 7F7611BB
	v_perm_b32 v166, v185, v184, s53                           // 000000009398: D1ED00A6 00D771B9
	v_perm_b32 v166, v186, v166, s54                           // 0000000093A0: D1ED00A6 00DB4DBA
	v_perm_b32 v166, v187, v166, s55                           // 0000000093A8: D1ED00A6 00DF4DBB
	v_pk_mul_f32 v[188:189], v[40:41], v[188:189]              // 0000000093B0: D3B140BC 18037928
	v_pk_mul_f32 v[190:191], v[40:41], v[190:191]              // 0000000093B8: D3B140BE 18037D28
	v_cvt_i32_f32_e32 v188, v188                               // 0000000093C0: 7F7811BC
	v_cvt_i32_f32_e32 v189, v189                               // 0000000093C4: 7F7A11BD
	v_cvt_i32_f32_e32 v190, v190                               // 0000000093C8: 7F7C11BE
	v_cvt_i32_f32_e32 v191, v191                               // 0000000093CC: 7F7E11BF
	v_perm_b32 v167, v189, v188, s53                           // 0000000093D0: D1ED00A7 00D779BD
	v_perm_b32 v167, v190, v167, s54                           // 0000000093D8: D1ED00A7 00DB4FBE
	v_perm_b32 v167, v191, v167, s55                           // 0000000093E0: D1ED00A7 00DF4FBF
	v_mfma_i32_16x16x32_i8 v[224:227], a[100:101], v[196:197], v[224:227]// 0000000093E8: D3D700E0 0F838964
	v_mfma_i32_16x16x32_i8 v[224:227], a[102:103], v[198:199], v[224:227]// 0000000093F0: D3D700E0 0F838D66
	ds_write_b32 v11, v160 offset:2048                         // 0000000093F8: D81A0800 0000A00B
	ds_write_b32 v11, v161 offset:6144                         // 000000009400: D81A1800 0000A10B
	v_mfma_i32_16x16x32_i8 v[224:227], a[104:105], v[200:201], v[224:227]// 000000009408: D3D700E0 0F839168
	buffer_load_dwordx4 a[36:39], v36, s[24:27], 0 offen offset:1024// 000000009410: E05C1400 80862424
	v_mfma_i32_16x16x32_i8 v[224:227], a[106:107], v[202:203], v[224:227]// 000000009418: D3D700E0 0F83956A
	ds_write_b32 v11, v162 offset:3072                         // 000000009420: D81A0C00 0000A20B
	ds_write_b32 v11, v163 offset:7168                         // 000000009428: D81A1C00 0000A30B
	v_mfma_i32_16x16x32_i8 v[224:227], a[108:109], v[204:205], v[224:227]// 000000009430: D3D700E0 0F83996C
	v_mfma_i32_16x16x32_i8 v[224:227], a[110:111], v[206:207], v[224:227]// 000000009438: D3D700E0 0F839D6E
	ds_write_b32 v11, v164 offset:4096                         // 000000009440: D81A1000 0000A40B
	ds_write_b32 v11, v165 offset:8192                         // 000000009448: D81A2000 0000A50B
	v_cvt_f32_i32_e32 v228, v228                               // 000000009450: 7FC80BE4
	v_cvt_f32_i32_e32 v229, v229                               // 000000009454: 7FCA0BE5
	v_cvt_f32_i32_e32 v230, v230                               // 000000009458: 7FCC0BE6
	v_cvt_f32_i32_e32 v231, v231                               // 00000000945C: 7FCE0BE7
	v_pk_fma_f32 v[76:77], v[228:229], v[234:235], v[76:77]    // 000000009460: D3B0404C 1D33D5E4
	v_pk_fma_f32 v[78:79], v[230:231], v[234:235], v[78:79]    // 000000009468: D3B0404E 1D3BD5E6
	v_mfma_i32_16x16x32_i8 v[228:231], a[96:97], v[208:209], 0 // 000000009470: D3D700E4 0A03A160
	buffer_load_dwordx4 a[40:43], v36, s[24:27], 0 offen offset:2048// 000000009478: E05C1800 80862824
	v_mfma_i32_16x16x32_i8 v[228:231], a[98:99], v[210:211], v[228:231]// 000000009480: D3D700E4 0F93A562
	ds_write_b32 v11, v166 offset:5120                         // 000000009488: D81A1400 0000A60B
	ds_write_b32 v11, v167 offset:9216                         // 000000009490: D81A2400 0000A70B
	v_mfma_i32_16x16x32_i8 v[228:231], a[100:101], v[212:213], v[228:231]// 000000009498: D3D700E4 0F93A964
	v_mfma_i32_16x16x32_i8 v[228:231], a[102:103], v[214:215], v[228:231]// 0000000094A0: D3D700E4 0F93AD66
	v_mfma_i32_16x16x32_i8 v[228:231], a[104:105], v[216:217], v[228:231]// 0000000094A8: D3D700E4 0F93B168
	buffer_load_dwordx4 a[44:47], v36, s[24:27], 0 offen offset:3072// 0000000094B0: E05C1C00 80862C24
	v_mfma_i32_16x16x32_i8 v[228:231], a[106:107], v[218:219], v[228:231]// 0000000094B8: D3D700E4 0F93B56A
	v_mfma_i32_16x16x32_i8 v[228:231], a[108:109], v[220:221], v[228:231]// 0000000094C0: D3D700E4 0F93B96C
	v_mfma_i32_16x16x32_i8 v[228:231], a[110:111], v[222:223], v[228:231]// 0000000094C8: D3D700E4 0F93BD6E
	s_waitcnt lgkmcnt(0)                                       // 0000000094D0: BF8CC07F
	s_barrier                                                  // 0000000094D4: BF8A0000
	v_cvt_f32_i32_e32 v224, v224                               // 0000000094D8: 7FC00BE0
	v_cvt_f32_i32_e32 v225, v225                               // 0000000094DC: 7FC20BE1
	v_cvt_f32_i32_e32 v226, v226                               // 0000000094E0: 7FC40BE2
	v_cvt_f32_i32_e32 v227, v227                               // 0000000094E4: 7FC60BE3
	v_pk_fma_f32 v[80:81], v[224:225], v[232:233], v[80:81]    // 0000000094E8: D3B04050 1D43D1E0
	v_pk_fma_f32 v[82:83], v[226:227], v[232:233], v[82:83]    // 0000000094F0: D3B04052 1D4BD1E2
	s_waitcnt vmcnt(12)                                        // 0000000094F8: BF8C0F7C
	v_mfma_i32_16x16x32_i8 v[224:227], a[112:113], v[192:193], 0// 0000000094FC: D3D700E0 0A038170
	buffer_load_dwordx4 a[48:51], v37, s[24:27], 0 offen       // 000000009504: E05C1000 80863025
	v_mfma_i32_16x16x32_i8 v[224:227], a[114:115], v[194:195], v[224:227]// 00000000950C: D3D700E0 0F838572
	ds_read_b64 v[160:161], v12 offset:2048                    // 000000009514: D8EC0800 A000000C
	ds_read_b64 v[162:163], v12 offset:2176                    // 00000000951C: D8EC0880 A200000C
	v_mfma_i32_16x16x32_i8 v[224:227], a[116:117], v[196:197], v[224:227]// 000000009524: D3D700E0 0F838974
	v_mfma_i32_16x16x32_i8 v[224:227], a[118:119], v[198:199], v[224:227]// 00000000952C: D3D700E0 0F838D76
	ds_read_b64 v[164:165], v12 offset:3072                    // 000000009534: D8EC0C00 A400000C
	ds_read_b64 v[166:167], v12 offset:3200                    // 00000000953C: D8EC0C80 A600000C
	v_mfma_i32_16x16x32_i8 v[224:227], a[120:121], v[200:201], v[224:227]// 000000009544: D3D700E0 0F839178
	buffer_load_dwordx4 a[52:55], v37, s[24:27], 0 offen offset:1024// 00000000954C: E05C1400 80863425
	v_mfma_i32_16x16x32_i8 v[224:227], a[122:123], v[202:203], v[224:227]// 000000009554: D3D700E0 0F83957A
	ds_read_b64 v[168:169], v12 offset:4096                    // 00000000955C: D8EC1000 A800000C
	ds_read_b64 v[170:171], v12 offset:4224                    // 000000009564: D8EC1080 AA00000C
	v_mfma_i32_16x16x32_i8 v[224:227], a[124:125], v[204:205], v[224:227]// 00000000956C: D3D700E0 0F83997C
	v_mfma_i32_16x16x32_i8 v[224:227], a[126:127], v[206:207], v[224:227]// 000000009574: D3D700E0 0F839D7E
	ds_read_b64 v[172:173], v12 offset:5120                    // 00000000957C: D8EC1400 AC00000C
	ds_read_b64 v[174:175], v12 offset:5248                    // 000000009584: D8EC1480 AE00000C
	v_cvt_f32_i32_e32 v228, v228                               // 00000000958C: 7FC80BE4
	v_cvt_f32_i32_e32 v229, v229                               // 000000009590: 7FCA0BE5
	v_cvt_f32_i32_e32 v230, v230                               // 000000009594: 7FCC0BE6
	v_cvt_f32_i32_e32 v231, v231                               // 000000009598: 7FCE0BE7
	v_pk_fma_f32 v[84:85], v[228:229], v[234:235], v[84:85]    // 00000000959C: D3B04054 1D53D5E4
	v_pk_fma_f32 v[86:87], v[230:231], v[234:235], v[86:87]    // 0000000095A4: D3B04056 1D5BD5E6
	v_mfma_i32_16x16x32_i8 v[228:231], a[112:113], v[208:209], 0// 0000000095AC: D3D700E4 0A03A170
	buffer_load_dwordx4 a[56:59], v37, s[24:27], 0 offen offset:2048// 0000000095B4: E05C1800 80863825
	v_mfma_i32_16x16x32_i8 v[228:231], a[114:115], v[210:211], v[228:231]// 0000000095BC: D3D700E4 0F93A572
	ds_read_b64 v[176:177], v12 offset:6144                    // 0000000095C4: D8EC1800 B000000C
	ds_read_b64 v[178:179], v12 offset:6272                    // 0000000095CC: D8EC1880 B200000C
	v_mfma_i32_16x16x32_i8 v[228:231], a[116:117], v[212:213], v[228:231]// 0000000095D4: D3D700E4 0F93A974
	v_mfma_i32_16x16x32_i8 v[228:231], a[118:119], v[214:215], v[228:231]// 0000000095DC: D3D700E4 0F93AD76
	ds_read_b64 v[180:181], v12 offset:7168                    // 0000000095E4: D8EC1C00 B400000C
	ds_read_b64 v[182:183], v12 offset:7296                    // 0000000095EC: D8EC1C80 B600000C
	v_mfma_i32_16x16x32_i8 v[228:231], a[120:121], v[216:217], v[228:231]// 0000000095F4: D3D700E4 0F93B178
	buffer_load_dwordx4 a[60:63], v37, s[24:27], 0 offen offset:3072// 0000000095FC: E05C1C00 80863C25
	v_mfma_i32_16x16x32_i8 v[228:231], a[122:123], v[218:219], v[228:231]// 000000009604: D3D700E4 0F93B57A
	ds_read_b64 v[184:185], v12 offset:8192                    // 00000000960C: D8EC2000 B800000C
	ds_read_b64 v[186:187], v12 offset:8320                    // 000000009614: D8EC2080 BA00000C
	v_mfma_i32_16x16x32_i8 v[228:231], a[124:125], v[220:221], v[228:231]// 00000000961C: D3D700E4 0F93B97C
	v_mfma_i32_16x16x32_i8 v[228:231], a[126:127], v[222:223], v[228:231]// 000000009624: D3D700E4 0F93BD7E
	ds_read_b64 v[188:189], v12 offset:9216                    // 00000000962C: D8EC2400 BC00000C
	ds_read_b64 v[190:191], v12 offset:9344                    // 000000009634: D8EC2480 BE00000C
	v_cvt_f32_i32_e32 v224, v224                               // 00000000963C: 7FC00BE0
	v_cvt_f32_i32_e32 v225, v225                               // 000000009640: 7FC20BE1
	v_cvt_f32_i32_e32 v226, v226                               // 000000009644: 7FC40BE2
	v_cvt_f32_i32_e32 v227, v227                               // 000000009648: 7FC60BE3
	v_pk_fma_f32 v[88:89], v[224:225], v[232:233], v[88:89]    // 00000000964C: D3B04058 1D63D1E0
	v_pk_fma_f32 v[90:91], v[226:227], v[232:233], v[90:91]    // 000000009654: D3B0405A 1D6BD1E2
	v_cvt_f32_i32_e32 v228, v228                               // 00000000965C: 7FC80BE4
	v_cvt_f32_i32_e32 v229, v229                               // 000000009660: 7FCA0BE5
	v_cvt_f32_i32_e32 v230, v230                               // 000000009664: 7FCC0BE6
	v_cvt_f32_i32_e32 v231, v231                               // 000000009668: 7FCE0BE7
	v_pk_fma_f32 v[92:93], v[228:229], v[234:235], v[92:93]    // 00000000966C: D3B0405C 1D73D5E4
	v_pk_fma_f32 v[94:95], v[230:231], v[234:235], v[94:95]    // 000000009674: D3B0405E 1D7BD5E6
	s_add_u32 s60, 0x200, s80                                  // 00000000967C: 803C50FF 00000200
	s_cmp_lt_u32 s60, s81                                      // 000000009684: BF0A513C
	s_cselect_b32 s57, s57, 0                                  // 000000009688: 85398039
	s_cselect_b32 s91, s91, 0                                  // 00000000968C: 855B805B
	s_add_u32 s60, 0x200, s80                                  // 000000009690: 803C50FF 00000200
	s_cmp_lt_u32 s60, s81                                      // 000000009698: BF0A513C
	s_cselect_b32 s58, s58, 0                                  // 00000000969C: 853A803A
	s_add_u32 s20, s57, s20                                    // 0000000096A0: 80141439
	s_addc_u32 s21, 0, s21                                     // 0000000096A4: 82151580
	s_add_u32 s28, s91, s28                                    // 0000000096A8: 801C1C5B
	s_addc_u32 s29, 0, s29                                     // 0000000096AC: 821D1D80
	s_add_u32 s24, s58, s24                                    // 0000000096B0: 8018183A
	s_addc_u32 s25, 0, s25                                     // 0000000096B4: 82191980
	s_add_u32 s92, s90, s92                                    // 0000000096B8: 805C5C5A
	s_addc_u32 s93, 0, s93                                     // 0000000096BC: 825D5D80
	s_addk_i32 s80, 0x100                                      // 0000000096C0: B7500100
	s_cmp_lt_i32 s80, s81                                      // 0000000096C4: BF045150
	s_cbranch_scc0 label_1A34                                  // 0000000096C8: BF840001
	s_branch label_12D3                                        // 0000000096CC: BF82F89F

00000000000096d0 <label_1A34>:
	s_mov_b32 s20, 0                                           // 0000000096D0: BE940080
	s_cmp_lt_u32 s89, s66                                      // 0000000096D4: BF0A4259
	s_cselect_b32 s60, 0, 1                                    // 0000000096D8: 853C8180
	s_lshl1_add_u32 s20, s20, s60                              // 0000000096DC: 97143C14
	s_cmp_lt_u32 s88, s66                                      // 0000000096E0: BF0A4258
	s_cselect_b32 s60, 0, 1                                    // 0000000096E4: 853C8180
	s_lshl1_add_u32 s20, s20, s60                              // 0000000096E8: 97143C14
	s_cmp_lt_u32 s87, s66                                      // 0000000096EC: BF0A4257
	s_cselect_b32 s60, 0, 1                                    // 0000000096F0: 853C8180
	s_lshl1_add_u32 s20, s20, s60                              // 0000000096F4: 97143C14
	s_cmp_lt_u32 s86, s66                                      // 0000000096F8: BF0A4256
	s_cselect_b32 s60, 0, 1                                    // 0000000096FC: 853C8180
	s_lshl1_add_u32 s20, s20, s60                              // 000000009700: 97143C14
	s_cmp_lt_u32 s85, s66                                      // 000000009704: BF0A4255
	s_cselect_b32 s60, 0, 1                                    // 000000009708: 853C8180
	s_lshl1_add_u32 s20, s20, s60                              // 00000000970C: 97143C14
	s_cmp_lt_u32 s84, s66                                      // 000000009710: BF0A4254
	s_cselect_b32 s60, 0, 1                                    // 000000009714: 853C8180
	s_lshl1_add_u32 s20, s20, s60                              // 000000009718: 97143C14
	s_cmp_lt_u32 s83, s66                                      // 00000000971C: BF0A4253
	s_cselect_b32 s60, 0, 1                                    // 000000009720: 853C8180
	s_lshl1_add_u32 s20, s20, s60                              // 000000009724: 97143C14
	s_cmp_lt_u32 s82, s66                                      // 000000009728: BF0A4252
	s_cselect_b32 s60, 0, 1                                    // 00000000972C: 853C8180
	s_lshl1_add_u32 s20, s20, s60                              // 000000009730: 97143C14
	v_mov_b32_e32 v50, 0xbfcc4231                              // 000000009734: 7E6402FF BFCC4231
	v_mov_b32_e32 v51, 0xbfcc4231                              // 00000000973C: 7E6602FF BFCC4231
	v_mov_b32_e32 v47, 0xffff0000                              // 000000009744: 7E5E02FF FFFF0000
	v_mov_b32_e32 v48, 0x7fff0000                              // 00000000974C: 7E6002FF 7FFF0000
	v_mov_b32_e32 v49, 0x7fff                                  // 000000009754: 7E6202FF 00007FFF
	s_mul_i32 s60, s5, 16                                      // 00000000975C: 923C9005
	s_mul_i32 s60, s60, s70                                    // 000000009760: 923C463C
	v_lshlrev_b32_e32 v42, 4, v0                               // 000000009764: 24540084
	v_add_u32_e32 v42, s60, v42                                // 000000009768: 6854543C
	s_mul_i32 s60, 64, s70                                     // 00000000976C: 923C46C0
	v_add_u32_e32 v43, s60, v42                                // 000000009770: 6856543C
	v_add_u32_e32 v44, s60, v43                                // 000000009774: 6858563C
	v_add_u32_e32 v45, s60, v44                                // 000000009778: 685A583C
	v_lshrrev_b32_e32 v38, 4, v0                               // 00000000977C: 204C0084
	v_mul_i32_i24_e32 v3, 34, v38                              // 000000009780: 0C064CA2
	v_and_b32_e32 v38, 15, v0                                  // 000000009784: 264C008F
	v_mul_i32_i24_e32 v39, 2, v38                              // 000000009788: 0C4E4C82
	v_add_u32_e32 v3, v39, v3                                  // 00000000978C: 68060727
	s_mul_i32 s60, s5, 0x88                                    // 000000009790: 923CFF05 00000088
	v_add_u32_e32 v3, s60, v3                                  // 000000009798: 6806063C
	v_lshlrev_b32_e32 v3, 2, v3                                // 00000000979C: 24060682
	v_lshrrev_b32_e32 v38, 1, v0                               // 0000000097A0: 204C0081
	v_mul_i32_i24_e32 v4, 34, v38                              // 0000000097A4: 0C084CA2
	v_and_b32_e32 v39, 1, v0                                   // 0000000097A8: 264E0081
	v_add_u32_e32 v4, v39, v4                                  // 0000000097AC: 68080927
	s_mul_i32 s60, s5, 2                                       // 0000000097B0: 923C8205
	v_add_u32_e32 v4, s60, v4                                  // 0000000097B4: 6808083C
	v_lshlrev_b32_e32 v4, 2, v4                                // 0000000097B8: 24080882
	v_mul_f32_dpp v128, v15, v128 row_newbcast:0 row_mask:0xf bank_mask:0xf// 0000000097BC: 0B0100FA FF01500F
	v_mul_f32_dpp v129, v15, v129 row_newbcast:1 row_mask:0xf bank_mask:0xf// 0000000097C4: 0B0302FA FF01510F
	v_mul_f32_dpp v130, v15, v130 row_newbcast:2 row_mask:0xf bank_mask:0xf// 0000000097CC: 0B0504FA FF01520F
	v_mul_f32_dpp v131, v15, v131 row_newbcast:3 row_mask:0xf bank_mask:0xf// 0000000097D4: 0B0706FA FF01530F
	v_mul_f32_dpp v132, v15, v132 row_newbcast:0 row_mask:0xf bank_mask:0xf// 0000000097DC: 0B0908FA FF01500F
	v_mul_f32_dpp v133, v15, v133 row_newbcast:1 row_mask:0xf bank_mask:0xf// 0000000097E4: 0B0B0AFA FF01510F
	v_mul_f32_dpp v134, v15, v134 row_newbcast:2 row_mask:0xf bank_mask:0xf// 0000000097EC: 0B0D0CFA FF01520F
	v_mul_f32_dpp v135, v15, v135 row_newbcast:3 row_mask:0xf bank_mask:0xf// 0000000097F4: 0B0F0EFA FF01530F
	v_mul_f32_dpp v136, v15, v136 row_newbcast:4 row_mask:0xf bank_mask:0xf// 0000000097FC: 0B1110FA FF01540F
	v_mul_f32_dpp v137, v15, v137 row_newbcast:5 row_mask:0xf bank_mask:0xf// 000000009804: 0B1312FA FF01550F
	v_mul_f32_dpp v138, v15, v138 row_newbcast:6 row_mask:0xf bank_mask:0xf// 00000000980C: 0B1514FA FF01560F
	v_mul_f32_dpp v139, v15, v139 row_newbcast:7 row_mask:0xf bank_mask:0xf// 000000009814: 0B1716FA FF01570F
	v_mul_f32_dpp v140, v15, v140 row_newbcast:4 row_mask:0xf bank_mask:0xf// 00000000981C: 0B1918FA FF01540F
	v_mul_f32_dpp v141, v15, v141 row_newbcast:5 row_mask:0xf bank_mask:0xf// 000000009824: 0B1B1AFA FF01550F
	v_mul_f32_dpp v142, v15, v142 row_newbcast:6 row_mask:0xf bank_mask:0xf// 00000000982C: 0B1D1CFA FF01560F
	v_mul_f32_dpp v143, v15, v143 row_newbcast:7 row_mask:0xf bank_mask:0xf// 000000009834: 0B1F1EFA FF01570F
	v_mul_f32_dpp v144, v15, v144 row_newbcast:8 row_mask:0xf bank_mask:0xf// 00000000983C: 0B2120FA FF01580F
	v_mul_f32_dpp v145, v15, v145 row_newbcast:9 row_mask:0xf bank_mask:0xf// 000000009844: 0B2322FA FF01590F
	v_mul_f32_dpp v146, v15, v146 row_newbcast:10 row_mask:0xf bank_mask:0xf// 00000000984C: 0B2524FA FF015A0F
	v_mul_f32_dpp v147, v15, v147 row_newbcast:11 row_mask:0xf bank_mask:0xf// 000000009854: 0B2726FA FF015B0F
	v_mul_f32_dpp v148, v15, v148 row_newbcast:8 row_mask:0xf bank_mask:0xf// 00000000985C: 0B2928FA FF01580F
	v_mul_f32_dpp v149, v15, v149 row_newbcast:9 row_mask:0xf bank_mask:0xf// 000000009864: 0B2B2AFA FF01590F
	v_mul_f32_dpp v150, v15, v150 row_newbcast:10 row_mask:0xf bank_mask:0xf// 00000000986C: 0B2D2CFA FF015A0F
	v_mul_f32_dpp v151, v15, v151 row_newbcast:11 row_mask:0xf bank_mask:0xf// 000000009874: 0B2F2EFA FF015B0F
	v_mul_f32_dpp v152, v15, v152 row_newbcast:12 row_mask:0xf bank_mask:0xf// 00000000987C: 0B3130FA FF015C0F
	v_mul_f32_dpp v153, v15, v153 row_newbcast:13 row_mask:0xf bank_mask:0xf// 000000009884: 0B3332FA FF015D0F
	v_mul_f32_dpp v154, v15, v154 row_newbcast:14 row_mask:0xf bank_mask:0xf// 00000000988C: 0B3534FA FF015E0F
	v_mul_f32_dpp v155, v15, v155 row_newbcast:15 row_mask:0xf bank_mask:0xf// 000000009894: 0B3736FA FF015F0F
	v_mul_f32_dpp v156, v15, v156 row_newbcast:12 row_mask:0xf bank_mask:0xf// 00000000989C: 0B3938FA FF015C0F
	v_mul_f32_dpp v157, v15, v157 row_newbcast:13 row_mask:0xf bank_mask:0xf// 0000000098A4: 0B3B3AFA FF015D0F
	v_mul_f32_dpp v158, v15, v158 row_newbcast:14 row_mask:0xf bank_mask:0xf// 0000000098AC: 0B3D3CFA FF015E0F
	v_mul_f32_dpp v159, v15, v159 row_newbcast:15 row_mask:0xf bank_mask:0xf// 0000000098B4: 0B3F3EFA FF015F0F
	v_mul_f32_dpp v64, v8, v64 row_newbcast:0 row_mask:0xf bank_mask:0xf// 0000000098BC: 0A8080FA FF015008
	v_mul_f32_dpp v65, v8, v65 row_newbcast:1 row_mask:0xf bank_mask:0xf// 0000000098C4: 0A8282FA FF015108
	v_mul_f32_dpp v66, v8, v66 row_newbcast:2 row_mask:0xf bank_mask:0xf// 0000000098CC: 0A8484FA FF015208
	v_mul_f32_dpp v67, v8, v67 row_newbcast:3 row_mask:0xf bank_mask:0xf// 0000000098D4: 0A8686FA FF015308
	v_mul_f32_dpp v68, v8, v68 row_newbcast:0 row_mask:0xf bank_mask:0xf// 0000000098DC: 0A8888FA FF015008
	v_mul_f32_dpp v69, v8, v69 row_newbcast:1 row_mask:0xf bank_mask:0xf// 0000000098E4: 0A8A8AFA FF015108
	v_mul_f32_dpp v70, v8, v70 row_newbcast:2 row_mask:0xf bank_mask:0xf// 0000000098EC: 0A8C8CFA FF015208
	v_mul_f32_dpp v71, v8, v71 row_newbcast:3 row_mask:0xf bank_mask:0xf// 0000000098F4: 0A8E8EFA FF015308
	v_mul_f32_dpp v72, v8, v72 row_newbcast:4 row_mask:0xf bank_mask:0xf// 0000000098FC: 0A9090FA FF015408
	v_mul_f32_dpp v73, v8, v73 row_newbcast:5 row_mask:0xf bank_mask:0xf// 000000009904: 0A9292FA FF015508
	v_mul_f32_dpp v74, v8, v74 row_newbcast:6 row_mask:0xf bank_mask:0xf// 00000000990C: 0A9494FA FF015608
	v_mul_f32_dpp v75, v8, v75 row_newbcast:7 row_mask:0xf bank_mask:0xf// 000000009914: 0A9696FA FF015708
	v_mul_f32_dpp v76, v8, v76 row_newbcast:4 row_mask:0xf bank_mask:0xf// 00000000991C: 0A9898FA FF015408
	v_mul_f32_dpp v77, v8, v77 row_newbcast:5 row_mask:0xf bank_mask:0xf// 000000009924: 0A9A9AFA FF015508
	v_mul_f32_dpp v78, v8, v78 row_newbcast:6 row_mask:0xf bank_mask:0xf// 00000000992C: 0A9C9CFA FF015608
	v_mul_f32_dpp v79, v8, v79 row_newbcast:7 row_mask:0xf bank_mask:0xf// 000000009934: 0A9E9EFA FF015708
	v_mul_f32_dpp v80, v8, v80 row_newbcast:8 row_mask:0xf bank_mask:0xf// 00000000993C: 0AA0A0FA FF015808
	v_mul_f32_dpp v81, v8, v81 row_newbcast:9 row_mask:0xf bank_mask:0xf// 000000009944: 0AA2A2FA FF015908
	v_mul_f32_dpp v82, v8, v82 row_newbcast:10 row_mask:0xf bank_mask:0xf// 00000000994C: 0AA4A4FA FF015A08
	v_mul_f32_dpp v83, v8, v83 row_newbcast:11 row_mask:0xf bank_mask:0xf// 000000009954: 0AA6A6FA FF015B08
	v_mul_f32_dpp v84, v8, v84 row_newbcast:8 row_mask:0xf bank_mask:0xf// 00000000995C: 0AA8A8FA FF015808
	v_mul_f32_dpp v85, v8, v85 row_newbcast:9 row_mask:0xf bank_mask:0xf// 000000009964: 0AAAAAFA FF015908
	v_mul_f32_dpp v86, v8, v86 row_newbcast:10 row_mask:0xf bank_mask:0xf// 00000000996C: 0AACACFA FF015A08
	v_mul_f32_dpp v87, v8, v87 row_newbcast:11 row_mask:0xf bank_mask:0xf// 000000009974: 0AAEAEFA FF015B08
	v_mul_f32_dpp v88, v8, v88 row_newbcast:12 row_mask:0xf bank_mask:0xf// 00000000997C: 0AB0B0FA FF015C08
	v_mul_f32_dpp v89, v8, v89 row_newbcast:13 row_mask:0xf bank_mask:0xf// 000000009984: 0AB2B2FA FF015D08
	v_mul_f32_dpp v90, v8, v90 row_newbcast:14 row_mask:0xf bank_mask:0xf// 00000000998C: 0AB4B4FA FF015E08
	v_mul_f32_dpp v91, v8, v91 row_newbcast:15 row_mask:0xf bank_mask:0xf// 000000009994: 0AB6B6FA FF015F08
	v_mul_f32_dpp v92, v8, v92 row_newbcast:12 row_mask:0xf bank_mask:0xf// 00000000999C: 0AB8B8FA FF015C08
	v_mul_f32_dpp v93, v8, v93 row_newbcast:13 row_mask:0xf bank_mask:0xf// 0000000099A4: 0ABABAFA FF015D08
	v_mul_f32_dpp v94, v8, v94 row_newbcast:14 row_mask:0xf bank_mask:0xf// 0000000099AC: 0ABCBCFA FF015E08
	v_mul_f32_dpp v95, v8, v95 row_newbcast:15 row_mask:0xf bank_mask:0xf// 0000000099B4: 0ABEBEFA FF015F08
	s_waitcnt vmcnt(12)                                        // 0000000099BC: BF8C0F7C
	buffer_load_dwordx4 a[0:3], v42, s[12:15], 0 offen         // 0000000099C0: E05C1000 8083002A
	v_mul_f32_e64 v38, -v128, s6                               // 0000000099C8: D1050026 20000D80
	v_mul_f32_e64 v39, -v129, s6                               // 0000000099D0: D1050027 20000D81
	v_mul_f32_e64 v40, -v130, s6                               // 0000000099D8: D1050028 20000D82
	v_mul_f32_e64 v41, -v131, s6                               // 0000000099E0: D1050029 20000D83
	v_exp_f32_e32 v38, v38                                     // 0000000099E8: 7E4C4126
	v_exp_f32_e32 v39, v39                                     // 0000000099EC: 7E4E4127
	v_exp_f32_e32 v40, v40                                     // 0000000099F0: 7E504128
	v_exp_f32_e32 v41, v41                                     // 0000000099F4: 7E524129
	buffer_load_dwordx4 a[4:7], v43, s[12:15], 0 offen         // 0000000099F8: E05C1000 8083042B
	v_add_f32_e64 v38, v38, 1.0                                // 000000009A00: D1010026 0001E526
	v_add_f32_e64 v39, v39, 1.0                                // 000000009A08: D1010027 0001E527
	v_add_f32_e64 v40, v40, 1.0                                // 000000009A10: D1010028 0001E528
	v_add_f32_e64 v41, v41, 1.0                                // 000000009A18: D1010029 0001E529
	v_rcp_f32_e32 v38, v38                                     // 000000009A20: 7E4C4526
	v_rcp_f32_e32 v39, v39                                     // 000000009A24: 7E4E4527
	v_rcp_f32_e32 v40, v40                                     // 000000009A28: 7E504528
	v_rcp_f32_e32 v41, v41                                     // 000000009A2C: 7E524529
	v_pk_mul_f32 v[128:129], v[128:129], v[38:39]              // 000000009A30: D3B14080 18024D80
	v_pk_mul_f32 v[130:131], v[130:131], v[40:41]              // 000000009A38: D3B14082 18025182
	v_pk_mul_f32 v[128:129], v[128:129], v[64:65]              // 000000009A40: D3B14080 18028180
	v_pk_mul_f32 v[130:131], v[130:131], v[66:67]              // 000000009A48: D3B14082 18028582
	buffer_load_dwordx4 a[8:11], v44, s[12:15], 0 offen        // 000000009A50: E05C1000 8083082C
	v_mul_f32_e64 v38, -v132, s6                               // 000000009A58: D1050026 20000D84
	v_mul_f32_e64 v39, -v133, s6                               // 000000009A60: D1050027 20000D85
	v_mul_f32_e64 v40, -v134, s6                               // 000000009A68: D1050028 20000D86
	v_mul_f32_e64 v41, -v135, s6                               // 000000009A70: D1050029 20000D87
	v_exp_f32_e32 v38, v38                                     // 000000009A78: 7E4C4126
	v_exp_f32_e32 v39, v39                                     // 000000009A7C: 7E4E4127
	v_exp_f32_e32 v40, v40                                     // 000000009A80: 7E504128
	v_exp_f32_e32 v41, v41                                     // 000000009A84: 7E524129
	buffer_load_dwordx4 a[12:15], v45, s[12:15], 0 offen       // 000000009A88: E05C1000 80830C2D
	s_add_u32 s12, s78, s12                                    // 000000009A90: 800C0C4E
	s_addc_u32 s13, 0, s13                                     // 000000009A94: 820D0D80
	v_add_f32_e64 v38, v38, 1.0                                // 000000009A98: D1010026 0001E526
	v_add_f32_e64 v39, v39, 1.0                                // 000000009AA0: D1010027 0001E527
	v_add_f32_e64 v40, v40, 1.0                                // 000000009AA8: D1010028 0001E528
	v_add_f32_e64 v41, v41, 1.0                                // 000000009AB0: D1010029 0001E529
	v_rcp_f32_e32 v38, v38                                     // 000000009AB8: 7E4C4526
	v_rcp_f32_e32 v39, v39                                     // 000000009ABC: 7E4E4527
	v_rcp_f32_e32 v40, v40                                     // 000000009AC0: 7E504528
	v_rcp_f32_e32 v41, v41                                     // 000000009AC4: 7E524529
	v_pk_mul_f32 v[132:133], v[132:133], v[38:39]              // 000000009AC8: D3B14084 18024D84
	v_pk_mul_f32 v[134:135], v[134:135], v[40:41]              // 000000009AD0: D3B14086 18025186
	v_pk_mul_f32 v[132:133], v[132:133], v[68:69]              // 000000009AD8: D3B14084 18028984
	v_pk_mul_f32 v[134:135], v[134:135], v[70:71]              // 000000009AE0: D3B14086 18028D86
	s_waitcnt vmcnt(12)                                        // 000000009AE8: BF8C0F7C
	buffer_load_dwordx4 a[16:19], v42, s[12:15], 0 offen       // 000000009AEC: E05C1000 8083102A
	v_mul_f32_e64 v38, -v136, s6                               // 000000009AF4: D1050026 20000D88
	v_mul_f32_e64 v39, -v137, s6                               // 000000009AFC: D1050027 20000D89
	v_mul_f32_e64 v40, -v138, s6                               // 000000009B04: D1050028 20000D8A
	v_mul_f32_e64 v41, -v139, s6                               // 000000009B0C: D1050029 20000D8B
	v_exp_f32_e32 v38, v38                                     // 000000009B14: 7E4C4126
	v_exp_f32_e32 v39, v39                                     // 000000009B18: 7E4E4127
	v_exp_f32_e32 v40, v40                                     // 000000009B1C: 7E504128
	v_exp_f32_e32 v41, v41                                     // 000000009B20: 7E524129
	buffer_load_dwordx4 a[20:23], v43, s[12:15], 0 offen       // 000000009B24: E05C1000 8083142B
	v_add_f32_e64 v38, v38, 1.0                                // 000000009B2C: D1010026 0001E526
	v_add_f32_e64 v39, v39, 1.0                                // 000000009B34: D1010027 0001E527
	v_add_f32_e64 v40, v40, 1.0                                // 000000009B3C: D1010028 0001E528
	v_add_f32_e64 v41, v41, 1.0                                // 000000009B44: D1010029 0001E529
	v_rcp_f32_e32 v38, v38                                     // 000000009B4C: 7E4C4526
	v_rcp_f32_e32 v39, v39                                     // 000000009B50: 7E4E4527
	v_rcp_f32_e32 v40, v40                                     // 000000009B54: 7E504528
	v_rcp_f32_e32 v41, v41                                     // 000000009B58: 7E524529
	v_pk_mul_f32 v[136:137], v[136:137], v[38:39]              // 000000009B5C: D3B14088 18024D88
	v_pk_mul_f32 v[138:139], v[138:139], v[40:41]              // 000000009B64: D3B1408A 1802518A
	v_pk_mul_f32 v[136:137], v[136:137], v[72:73]              // 000000009B6C: D3B14088 18029188
	v_pk_mul_f32 v[138:139], v[138:139], v[74:75]              // 000000009B74: D3B1408A 1802958A
	buffer_load_dwordx4 a[24:27], v44, s[12:15], 0 offen       // 000000009B7C: E05C1000 8083182C
	v_mul_f32_e64 v38, -v140, s6                               // 000000009B84: D1050026 20000D8C
	v_mul_f32_e64 v39, -v141, s6                               // 000000009B8C: D1050027 20000D8D
	v_mul_f32_e64 v40, -v142, s6                               // 000000009B94: D1050028 20000D8E
	v_mul_f32_e64 v41, -v143, s6                               // 000000009B9C: D1050029 20000D8F
	v_exp_f32_e32 v38, v38                                     // 000000009BA4: 7E4C4126
	v_exp_f32_e32 v39, v39                                     // 000000009BA8: 7E4E4127
	v_exp_f32_e32 v40, v40                                     // 000000009BAC: 7E504128
	v_exp_f32_e32 v41, v41                                     // 000000009BB0: 7E524129
	buffer_load_dwordx4 a[28:31], v45, s[12:15], 0 offen       // 000000009BB4: E05C1000 80831C2D
	s_add_u32 s12, s78, s12                                    // 000000009BBC: 800C0C4E
	s_addc_u32 s13, 0, s13                                     // 000000009BC0: 820D0D80
	v_add_f32_e64 v38, v38, 1.0                                // 000000009BC4: D1010026 0001E526
	v_add_f32_e64 v39, v39, 1.0                                // 000000009BCC: D1010027 0001E527
	v_add_f32_e64 v40, v40, 1.0                                // 000000009BD4: D1010028 0001E528
	v_add_f32_e64 v41, v41, 1.0                                // 000000009BDC: D1010029 0001E529
	v_rcp_f32_e32 v38, v38                                     // 000000009BE4: 7E4C4526
	v_rcp_f32_e32 v39, v39                                     // 000000009BE8: 7E4E4527
	v_rcp_f32_e32 v40, v40                                     // 000000009BEC: 7E504528
	v_rcp_f32_e32 v41, v41                                     // 000000009BF0: 7E524529
	v_pk_mul_f32 v[140:141], v[140:141], v[38:39]              // 000000009BF4: D3B1408C 18024D8C
	v_pk_mul_f32 v[142:143], v[142:143], v[40:41]              // 000000009BFC: D3B1408E 1802518E
	v_pk_mul_f32 v[140:141], v[140:141], v[76:77]              // 000000009C04: D3B1408C 1802998C
	v_pk_mul_f32 v[142:143], v[142:143], v[78:79]              // 000000009C0C: D3B1408E 18029D8E
	s_waitcnt vmcnt(12)                                        // 000000009C14: BF8C0F7C
	buffer_load_dwordx4 a[32:35], v42, s[12:15], 0 offen       // 000000009C18: E05C1000 8083202A
	v_mul_f32_e64 v38, -v144, s6                               // 000000009C20: D1050026 20000D90
	v_mul_f32_e64 v39, -v145, s6                               // 000000009C28: D1050027 20000D91
	v_mul_f32_e64 v40, -v146, s6                               // 000000009C30: D1050028 20000D92
	v_mul_f32_e64 v41, -v147, s6                               // 000000009C38: D1050029 20000D93
	v_exp_f32_e32 v38, v38                                     // 000000009C40: 7E4C4126
	v_exp_f32_e32 v39, v39                                     // 000000009C44: 7E4E4127
	v_exp_f32_e32 v40, v40                                     // 000000009C48: 7E504128
	v_exp_f32_e32 v41, v41                                     // 000000009C4C: 7E524129
	buffer_load_dwordx4 a[36:39], v43, s[12:15], 0 offen       // 000000009C50: E05C1000 8083242B
	v_add_f32_e64 v38, v38, 1.0                                // 000000009C58: D1010026 0001E526
	v_add_f32_e64 v39, v39, 1.0                                // 000000009C60: D1010027 0001E527
	v_add_f32_e64 v40, v40, 1.0                                // 000000009C68: D1010028 0001E528
	v_add_f32_e64 v41, v41, 1.0                                // 000000009C70: D1010029 0001E529
	v_rcp_f32_e32 v38, v38                                     // 000000009C78: 7E4C4526
	v_rcp_f32_e32 v39, v39                                     // 000000009C7C: 7E4E4527
	v_rcp_f32_e32 v40, v40                                     // 000000009C80: 7E504528
	v_rcp_f32_e32 v41, v41                                     // 000000009C84: 7E524529
	v_pk_mul_f32 v[144:145], v[144:145], v[38:39]              // 000000009C88: D3B14090 18024D90
	v_pk_mul_f32 v[146:147], v[146:147], v[40:41]              // 000000009C90: D3B14092 18025192
	v_pk_mul_f32 v[144:145], v[144:145], v[80:81]              // 000000009C98: D3B14090 1802A190
	v_pk_mul_f32 v[146:147], v[146:147], v[82:83]              // 000000009CA0: D3B14092 1802A592
	buffer_load_dwordx4 a[40:43], v44, s[12:15], 0 offen       // 000000009CA8: E05C1000 8083282C
	v_mul_f32_e64 v38, -v148, s6                               // 000000009CB0: D1050026 20000D94
	v_mul_f32_e64 v39, -v149, s6                               // 000000009CB8: D1050027 20000D95
	v_mul_f32_e64 v40, -v150, s6                               // 000000009CC0: D1050028 20000D96
	v_mul_f32_e64 v41, -v151, s6                               // 000000009CC8: D1050029 20000D97
	v_exp_f32_e32 v38, v38                                     // 000000009CD0: 7E4C4126
	v_exp_f32_e32 v39, v39                                     // 000000009CD4: 7E4E4127
	v_exp_f32_e32 v40, v40                                     // 000000009CD8: 7E504128
	v_exp_f32_e32 v41, v41                                     // 000000009CDC: 7E524129
	buffer_load_dwordx4 a[44:47], v45, s[12:15], 0 offen       // 000000009CE0: E05C1000 80832C2D
	s_add_u32 s12, s78, s12                                    // 000000009CE8: 800C0C4E
	s_addc_u32 s13, 0, s13                                     // 000000009CEC: 820D0D80
	v_add_f32_e64 v38, v38, 1.0                                // 000000009CF0: D1010026 0001E526
	v_add_f32_e64 v39, v39, 1.0                                // 000000009CF8: D1010027 0001E527
	v_add_f32_e64 v40, v40, 1.0                                // 000000009D00: D1010028 0001E528
	v_add_f32_e64 v41, v41, 1.0                                // 000000009D08: D1010029 0001E529
	v_rcp_f32_e32 v38, v38                                     // 000000009D10: 7E4C4526
	v_rcp_f32_e32 v39, v39                                     // 000000009D14: 7E4E4527
	v_rcp_f32_e32 v40, v40                                     // 000000009D18: 7E504528
	v_rcp_f32_e32 v41, v41                                     // 000000009D1C: 7E524529
	v_pk_mul_f32 v[148:149], v[148:149], v[38:39]              // 000000009D20: D3B14094 18024D94
	v_pk_mul_f32 v[150:151], v[150:151], v[40:41]              // 000000009D28: D3B14096 18025196
	v_pk_mul_f32 v[148:149], v[148:149], v[84:85]              // 000000009D30: D3B14094 1802A994
	v_pk_mul_f32 v[150:151], v[150:151], v[86:87]              // 000000009D38: D3B14096 1802AD96
	s_waitcnt vmcnt(12)                                        // 000000009D40: BF8C0F7C
	buffer_load_dwordx4 a[48:51], v42, s[12:15], 0 offen       // 000000009D44: E05C1000 8083302A
	v_mul_f32_e64 v38, -v152, s6                               // 000000009D4C: D1050026 20000D98
	v_mul_f32_e64 v39, -v153, s6                               // 000000009D54: D1050027 20000D99
	v_mul_f32_e64 v40, -v154, s6                               // 000000009D5C: D1050028 20000D9A
	v_mul_f32_e64 v41, -v155, s6                               // 000000009D64: D1050029 20000D9B
	v_exp_f32_e32 v38, v38                                     // 000000009D6C: 7E4C4126
	v_exp_f32_e32 v39, v39                                     // 000000009D70: 7E4E4127
	v_exp_f32_e32 v40, v40                                     // 000000009D74: 7E504128
	v_exp_f32_e32 v41, v41                                     // 000000009D78: 7E524129
	buffer_load_dwordx4 a[52:55], v43, s[12:15], 0 offen       // 000000009D7C: E05C1000 8083342B
	v_add_f32_e64 v38, v38, 1.0                                // 000000009D84: D1010026 0001E526
	v_add_f32_e64 v39, v39, 1.0                                // 000000009D8C: D1010027 0001E527
	v_add_f32_e64 v40, v40, 1.0                                // 000000009D94: D1010028 0001E528
	v_add_f32_e64 v41, v41, 1.0                                // 000000009D9C: D1010029 0001E529
	v_rcp_f32_e32 v38, v38                                     // 000000009DA4: 7E4C4526
	v_rcp_f32_e32 v39, v39                                     // 000000009DA8: 7E4E4527
	v_rcp_f32_e32 v40, v40                                     // 000000009DAC: 7E504528
	v_rcp_f32_e32 v41, v41                                     // 000000009DB0: 7E524529
	v_pk_mul_f32 v[152:153], v[152:153], v[38:39]              // 000000009DB4: D3B14098 18024D98
	v_pk_mul_f32 v[154:155], v[154:155], v[40:41]              // 000000009DBC: D3B1409A 1802519A
	v_pk_mul_f32 v[152:153], v[152:153], v[88:89]              // 000000009DC4: D3B14098 1802B198
	v_pk_mul_f32 v[154:155], v[154:155], v[90:91]              // 000000009DCC: D3B1409A 1802B59A
	buffer_load_dwordx4 a[56:59], v44, s[12:15], 0 offen       // 000000009DD4: E05C1000 8083382C
	v_mul_f32_e64 v38, -v156, s6                               // 000000009DDC: D1050026 20000D9C
	v_mul_f32_e64 v39, -v157, s6                               // 000000009DE4: D1050027 20000D9D
	v_mul_f32_e64 v40, -v158, s6                               // 000000009DEC: D1050028 20000D9E
	v_mul_f32_e64 v41, -v159, s6                               // 000000009DF4: D1050029 20000D9F
	v_exp_f32_e32 v38, v38                                     // 000000009DFC: 7E4C4126
	v_exp_f32_e32 v39, v39                                     // 000000009E00: 7E4E4127
	v_exp_f32_e32 v40, v40                                     // 000000009E04: 7E504128
	v_exp_f32_e32 v41, v41                                     // 000000009E08: 7E524129
	buffer_load_dwordx4 a[60:63], v45, s[12:15], 0 offen       // 000000009E0C: E05C1000 80833C2D
	v_add_f32_e64 v38, v38, 1.0                                // 000000009E14: D1010026 0001E526
	v_add_f32_e64 v39, v39, 1.0                                // 000000009E1C: D1010027 0001E527
	v_add_f32_e64 v40, v40, 1.0                                // 000000009E24: D1010028 0001E528
	v_add_f32_e64 v41, v41, 1.0                                // 000000009E2C: D1010029 0001E529
	v_rcp_f32_e32 v38, v38                                     // 000000009E34: 7E4C4526
	v_rcp_f32_e32 v39, v39                                     // 000000009E38: 7E4E4527
	v_rcp_f32_e32 v40, v40                                     // 000000009E3C: 7E504528
	v_rcp_f32_e32 v41, v41                                     // 000000009E40: 7E524529
	v_pk_mul_f32 v[156:157], v[156:157], v[38:39]              // 000000009E44: D3B1409C 18024D9C
	v_pk_mul_f32 v[158:159], v[158:159], v[40:41]              // 000000009E4C: D3B1409E 1802519E
	v_pk_mul_f32 v[156:157], v[156:157], v[92:93]              // 000000009E54: D3B1409C 1802B99C
	v_pk_mul_f32 v[158:159], v[158:159], v[94:95]              // 000000009E5C: D3B1409E 1802BD9E
	v_mul_f32_dpp v128, v16, v128 row_newbcast:0 row_mask:0xf bank_mask:0xf// 000000009E64: 0B0100FA FF015010
	v_mul_f32_dpp v129, v16, v129 row_newbcast:1 row_mask:0xf bank_mask:0xf// 000000009E6C: 0B0302FA FF015110
	v_mul_f32_dpp v130, v16, v130 row_newbcast:2 row_mask:0xf bank_mask:0xf// 000000009E74: 0B0504FA FF015210
	v_mul_f32_dpp v131, v16, v131 row_newbcast:3 row_mask:0xf bank_mask:0xf// 000000009E7C: 0B0706FA FF015310
	v_mul_f32_dpp v132, v16, v132 row_newbcast:0 row_mask:0xf bank_mask:0xf// 000000009E84: 0B0908FA FF015010
	v_mul_f32_dpp v133, v16, v133 row_newbcast:1 row_mask:0xf bank_mask:0xf// 000000009E8C: 0B0B0AFA FF015110
	v_mul_f32_dpp v134, v16, v134 row_newbcast:2 row_mask:0xf bank_mask:0xf// 000000009E94: 0B0D0CFA FF015210
	v_mul_f32_dpp v135, v16, v135 row_newbcast:3 row_mask:0xf bank_mask:0xf// 000000009E9C: 0B0F0EFA FF015310
	v_mul_f32_dpp v136, v16, v136 row_newbcast:4 row_mask:0xf bank_mask:0xf// 000000009EA4: 0B1110FA FF015410
	v_mul_f32_dpp v137, v16, v137 row_newbcast:5 row_mask:0xf bank_mask:0xf// 000000009EAC: 0B1312FA FF015510
	v_mul_f32_dpp v138, v16, v138 row_newbcast:6 row_mask:0xf bank_mask:0xf// 000000009EB4: 0B1514FA FF015610
	v_mul_f32_dpp v139, v16, v139 row_newbcast:7 row_mask:0xf bank_mask:0xf// 000000009EBC: 0B1716FA FF015710
	v_mul_f32_dpp v140, v16, v140 row_newbcast:4 row_mask:0xf bank_mask:0xf// 000000009EC4: 0B1918FA FF015410
	v_mul_f32_dpp v141, v16, v141 row_newbcast:5 row_mask:0xf bank_mask:0xf// 000000009ECC: 0B1B1AFA FF015510
	v_mul_f32_dpp v142, v16, v142 row_newbcast:6 row_mask:0xf bank_mask:0xf// 000000009ED4: 0B1D1CFA FF015610
	v_mul_f32_dpp v143, v16, v143 row_newbcast:7 row_mask:0xf bank_mask:0xf// 000000009EDC: 0B1F1EFA FF015710
	v_mul_f32_dpp v144, v16, v144 row_newbcast:8 row_mask:0xf bank_mask:0xf// 000000009EE4: 0B2120FA FF015810
	v_mul_f32_dpp v145, v16, v145 row_newbcast:9 row_mask:0xf bank_mask:0xf// 000000009EEC: 0B2322FA FF015910
	v_mul_f32_dpp v146, v16, v146 row_newbcast:10 row_mask:0xf bank_mask:0xf// 000000009EF4: 0B2524FA FF015A10
	v_mul_f32_dpp v147, v16, v147 row_newbcast:11 row_mask:0xf bank_mask:0xf// 000000009EFC: 0B2726FA FF015B10
	v_mul_f32_dpp v148, v16, v148 row_newbcast:8 row_mask:0xf bank_mask:0xf// 000000009F04: 0B2928FA FF015810
	v_mul_f32_dpp v149, v16, v149 row_newbcast:9 row_mask:0xf bank_mask:0xf// 000000009F0C: 0B2B2AFA FF015910
	v_mul_f32_dpp v150, v16, v150 row_newbcast:10 row_mask:0xf bank_mask:0xf// 000000009F14: 0B2D2CFA FF015A10
	v_mul_f32_dpp v151, v16, v151 row_newbcast:11 row_mask:0xf bank_mask:0xf// 000000009F1C: 0B2F2EFA FF015B10
	v_mul_f32_dpp v152, v16, v152 row_newbcast:12 row_mask:0xf bank_mask:0xf// 000000009F24: 0B3130FA FF015C10
	v_mul_f32_dpp v153, v16, v153 row_newbcast:13 row_mask:0xf bank_mask:0xf// 000000009F2C: 0B3332FA FF015D10
	v_mul_f32_dpp v154, v16, v154 row_newbcast:14 row_mask:0xf bank_mask:0xf// 000000009F34: 0B3534FA FF015E10
	v_mul_f32_dpp v155, v16, v155 row_newbcast:15 row_mask:0xf bank_mask:0xf// 000000009F3C: 0B3736FA FF015F10
	v_mul_f32_dpp v156, v16, v156 row_newbcast:12 row_mask:0xf bank_mask:0xf// 000000009F44: 0B3938FA FF015C10
	v_mul_f32_dpp v157, v16, v157 row_newbcast:13 row_mask:0xf bank_mask:0xf// 000000009F4C: 0B3B3AFA FF015D10
	v_mul_f32_dpp v158, v16, v158 row_newbcast:14 row_mask:0xf bank_mask:0xf// 000000009F54: 0B3D3CFA FF015E10
	v_mul_f32_dpp v159, v16, v159 row_newbcast:15 row_mask:0xf bank_mask:0xf// 000000009F5C: 0B3F3EFA FF015F10
	v_lshlrev_b32_e32 v38, 2, v0                               // 000000009F64: 244C0082
	s_mul_i32 s60, s82, s71                                    // 000000009F68: 923C4752
	v_add_u32_e64 v80, v38, s60                                // 000000009F6C: D1340050 00007926
	v_mov_b32_e32 v81, 0                                       // 000000009F74: 7EA20280
	s_mul_i32 s60, s83, s71                                    // 000000009F78: 923C4753
	v_add_u32_e64 v82, v38, s60                                // 000000009F7C: D1340052 00007926
	v_mov_b32_e32 v83, 0                                       // 000000009F84: 7EA60280
	s_mul_i32 s60, s84, s71                                    // 000000009F88: 923C4754
	v_add_u32_e64 v84, v38, s60                                // 000000009F8C: D1340054 00007926
	v_mov_b32_e32 v85, 0                                       // 000000009F94: 7EAA0280
	s_mul_i32 s60, s85, s71                                    // 000000009F98: 923C4755
	v_add_u32_e64 v86, v38, s60                                // 000000009F9C: D1340056 00007926
	v_mov_b32_e32 v87, 0                                       // 000000009FA4: 7EAE0280
	s_mul_i32 s60, s86, s71                                    // 000000009FA8: 923C4756
	v_add_u32_e64 v88, v38, s60                                // 000000009FAC: D1340058 00007926
	v_mov_b32_e32 v89, 0                                       // 000000009FB4: 7EB20280
	s_mul_i32 s60, s87, s71                                    // 000000009FB8: 923C4757
	v_add_u32_e64 v90, v38, s60                                // 000000009FBC: D134005A 00007926
	v_mov_b32_e32 v91, 0                                       // 000000009FC4: 7EB60280
	s_mul_i32 s60, s88, s71                                    // 000000009FC8: 923C4758
	v_add_u32_e64 v92, v38, s60                                // 000000009FCC: D134005C 00007926
	v_mov_b32_e32 v93, 0                                       // 000000009FD4: 7EBA0280
	s_mul_i32 s60, s89, s71                                    // 000000009FD8: 923C4759
	v_add_u32_e64 v94, v38, s60                                // 000000009FDC: D134005E 00007926
	v_mov_b32_e32 v95, 0                                       // 000000009FE4: 7EBE0280
	buffer_load_dword v11, v5, s[16:19], 0 offen               // 000000009FE8: E0501000 80040B05
	v_mov_b32_e32 v20, 0x358637bd                              // 000000009FF0: 7E2802FF 358637BD
	v_mov_b32_e32 v21, 0x358637bd                              // 000000009FF8: 7E2A02FF 358637BD
	v_max3_f32 v20, |v128|, |v129|, v20                        // 00000000A000: D1D30314 04530380
	v_max3_f32 v20, |v130|, |v131|, v20                        // 00000000A008: D1D30314 04530782
	v_max3_f32 v21, |v132|, |v133|, v21                        // 00000000A010: D1D30315 04570B84
	v_max3_f32 v21, |v134|, |v135|, v21                        // 00000000A018: D1D30315 04570F86
	v_max3_f32 v20, |v136|, |v137|, v20                        // 00000000A020: D1D30314 04531388
	v_max3_f32 v20, |v138|, |v139|, v20                        // 00000000A028: D1D30314 0453178A
	v_max3_f32 v21, |v140|, |v141|, v21                        // 00000000A030: D1D30315 04571B8C
	v_max3_f32 v21, |v142|, |v143|, v21                        // 00000000A038: D1D30315 04571F8E
	v_max3_f32 v20, |v144|, |v145|, v20                        // 00000000A040: D1D30314 04532390
	v_max3_f32 v20, |v146|, |v147|, v20                        // 00000000A048: D1D30314 04532792
	v_max3_f32 v21, |v148|, |v149|, v21                        // 00000000A050: D1D30315 04572B94
	v_max3_f32 v21, |v150|, |v151|, v21                        // 00000000A058: D1D30315 04572F96
	v_max3_f32 v20, |v152|, |v153|, v20                        // 00000000A060: D1D30314 04533398
	v_max3_f32 v20, |v154|, |v155|, v20                        // 00000000A068: D1D30314 0453379A
	v_max3_f32 v21, |v156|, |v157|, v21                        // 00000000A070: D1D30315 04573B9C
	v_max3_f32 v21, |v158|, |v159|, v21                        // 00000000A078: D1D30315 04573F9E
	v_lshlrev_b32_e32 v38, 3, v0                               // 00000000A080: 244C0083
	s_mul_i32 s60, 0x200, s5                                   // 00000000A084: 923C05FF 00000200
	v_add_u32_e32 v38, s60, v38                                // 00000000A08C: 684C4C3C
	ds_write_b64 v38, v[20:21]                                 // 00000000A090: D89A0000 00001426
	s_waitcnt lgkmcnt(0)                                       // 00000000A098: BF8CC07F
	s_barrier                                                  // 00000000A09C: BF8A0000
	v_and_b32_e32 v38, 15, v0                                  // 00000000A0A0: 264C008F
	v_lshlrev_b32_e32 v38, 3, v38                              // 00000000A0A4: 244C4C83
	ds_read_b64 v[96:97], v38                                  // 00000000A0A8: D8EC0000 60000026
	ds_read_b64 v[98:99], v38 offset:128                       // 00000000A0B0: D8EC0080 62000026
	ds_read_b64 v[100:101], v38 offset:256                     // 00000000A0B8: D8EC0100 64000026
	ds_read_b64 v[102:103], v38 offset:384                     // 00000000A0C0: D8EC0180 66000026
	ds_read_b64 v[104:105], v38 offset:512                     // 00000000A0C8: D8EC0200 68000026
	ds_read_b64 v[106:107], v38 offset:640                     // 00000000A0D0: D8EC0280 6A000026
	ds_read_b64 v[108:109], v38 offset:768                     // 00000000A0D8: D8EC0300 6C000026
	ds_read_b64 v[110:111], v38 offset:896                     // 00000000A0E0: D8EC0380 6E000026
	ds_read_b64 v[112:113], v38 offset:1024                    // 00000000A0E8: D8EC0400 70000026
	ds_read_b64 v[114:115], v38 offset:1152                    // 00000000A0F0: D8EC0480 72000026
	ds_read_b64 v[116:117], v38 offset:1280                    // 00000000A0F8: D8EC0500 74000026
	ds_read_b64 v[118:119], v38 offset:1408                    // 00000000A100: D8EC0580 76000026
	ds_read_b64 v[120:121], v38 offset:1536                    // 00000000A108: D8EC0600 78000026
	ds_read_b64 v[122:123], v38 offset:1664                    // 00000000A110: D8EC0680 7A000026
	ds_read_b64 v[124:125], v38 offset:1792                    // 00000000A118: D8EC0700 7C000026
	ds_read_b64 v[126:127], v38 offset:1920                    // 00000000A120: D8EC0780 7E000026
	s_waitcnt lgkmcnt(0)                                       // 00000000A128: BF8CC07F
	v_max3_f32 v20, |v96|, |v98|, v20                          // 00000000A12C: D1D30314 0452C560
	v_max3_f32 v21, |v97|, |v99|, v21                          // 00000000A134: D1D30315 0456C761
	v_max3_f32 v20, |v100|, |v102|, v20                        // 00000000A13C: D1D30314 0452CD64
	v_max3_f32 v21, |v101|, |v103|, v21                        // 00000000A144: D1D30315 0456CF65
	v_max3_f32 v20, |v104|, |v106|, v20                        // 00000000A14C: D1D30314 0452D568
	v_max3_f32 v21, |v105|, |v107|, v21                        // 00000000A154: D1D30315 0456D769
	v_max3_f32 v20, |v108|, |v110|, v20                        // 00000000A15C: D1D30314 0452DD6C
	v_max3_f32 v21, |v109|, |v111|, v21                        // 00000000A164: D1D30315 0456DF6D
	v_max3_f32 v20, |v112|, |v114|, v20                        // 00000000A16C: D1D30314 0452E570
	v_max3_f32 v21, |v113|, |v115|, v21                        // 00000000A174: D1D30315 0456E771
	v_max3_f32 v20, |v116|, |v118|, v20                        // 00000000A17C: D1D30314 0452ED74
	v_max3_f32 v21, |v117|, |v119|, v21                        // 00000000A184: D1D30315 0456EF75
	v_max3_f32 v20, |v120|, |v122|, v20                        // 00000000A18C: D1D30314 0452F578
	v_max3_f32 v21, |v121|, |v123|, v21                        // 00000000A194: D1D30315 0456F779
	v_max3_f32 v20, |v124|, |v126|, v20                        // 00000000A19C: D1D30314 0452FD7C
	v_max3_f32 v21, |v125|, |v127|, v21                        // 00000000A1A4: D1D30315 0456FF7D
	v_rcp_f32_e32 v20, v20                                     // 00000000A1AC: 7E284514
	v_rcp_f32_e32 v21, v21                                     // 00000000A1B0: 7E2A4515
	v_mov_b32_e32 v38, 0x42fe0000                              // 00000000A1B4: 7E4C02FF 42FE0000
	v_mul_f32_e32 v20, v38, v20                                // 00000000A1BC: 0A282926
	v_mul_f32_e32 v21, v38, v21                                // 00000000A1C0: 0A2A2B26
	v_mul_f32_e32 v128, v20, v128                              // 00000000A1C4: 0B010114
	v_mul_f32_e32 v129, v20, v129                              // 00000000A1C8: 0B030314
	v_mul_f32_e32 v130, v20, v130                              // 00000000A1CC: 0B050514
	v_mul_f32_e32 v131, v20, v131                              // 00000000A1D0: 0B070714
	v_cvt_i32_f32_e32 v128, v128                               // 00000000A1D4: 7F001180
	v_cvt_i32_f32_e32 v129, v129                               // 00000000A1D8: 7F021181
	v_cvt_i32_f32_e32 v130, v130                               // 00000000A1DC: 7F041182
	v_cvt_i32_f32_e32 v131, v131                               // 00000000A1E0: 7F061183
	v_perm_b32 v128, v129, v128, s53                           // 00000000A1E4: D1ED0080 00D70181
	v_perm_b32 v128, v130, v128, s54                           // 00000000A1EC: D1ED0080 00DB0182
	v_perm_b32 v128, v131, v128, s55                           // 00000000A1F4: D1ED0080 00DF0183
	v_mul_f32_e32 v132, v21, v132                              // 00000000A1FC: 0B090915
	v_mul_f32_e32 v133, v21, v133                              // 00000000A200: 0B0B0B15
	v_mul_f32_e32 v134, v21, v134                              // 00000000A204: 0B0D0D15
	v_mul_f32_e32 v135, v21, v135                              // 00000000A208: 0B0F0F15
	v_cvt_i32_f32_e32 v132, v132                               // 00000000A20C: 7F081184
	v_cvt_i32_f32_e32 v133, v133                               // 00000000A210: 7F0A1185
	v_cvt_i32_f32_e32 v134, v134                               // 00000000A214: 7F0C1186
	v_cvt_i32_f32_e32 v135, v135                               // 00000000A218: 7F0E1187
	v_perm_b32 v129, v133, v132, s53                           // 00000000A21C: D1ED0081 00D70985
	v_perm_b32 v129, v134, v129, s54                           // 00000000A224: D1ED0081 00DB0386
	v_perm_b32 v129, v135, v129, s55                           // 00000000A22C: D1ED0081 00DF0387
	v_mul_f32_e32 v136, v20, v136                              // 00000000A234: 0B111114
	v_mul_f32_e32 v137, v20, v137                              // 00000000A238: 0B131314
	v_mul_f32_e32 v138, v20, v138                              // 00000000A23C: 0B151514
	v_mul_f32_e32 v139, v20, v139                              // 00000000A240: 0B171714
	v_cvt_i32_f32_e32 v136, v136                               // 00000000A244: 7F101188
	v_cvt_i32_f32_e32 v137, v137                               // 00000000A248: 7F121189
	v_cvt_i32_f32_e32 v138, v138                               // 00000000A24C: 7F14118A
	v_cvt_i32_f32_e32 v139, v139                               // 00000000A250: 7F16118B
	v_perm_b32 v130, v137, v136, s53                           // 00000000A254: D1ED0082 00D71189
	v_perm_b32 v130, v138, v130, s54                           // 00000000A25C: D1ED0082 00DB058A
	v_perm_b32 v130, v139, v130, s55                           // 00000000A264: D1ED0082 00DF058B
	v_mul_f32_e32 v140, v21, v140                              // 00000000A26C: 0B191915
	v_mul_f32_e32 v141, v21, v141                              // 00000000A270: 0B1B1B15
	v_mul_f32_e32 v142, v21, v142                              // 00000000A274: 0B1D1D15
	v_mul_f32_e32 v143, v21, v143                              // 00000000A278: 0B1F1F15
	v_cvt_i32_f32_e32 v140, v140                               // 00000000A27C: 7F18118C
	v_cvt_i32_f32_e32 v141, v141                               // 00000000A280: 7F1A118D
	v_cvt_i32_f32_e32 v142, v142                               // 00000000A284: 7F1C118E
	v_cvt_i32_f32_e32 v143, v143                               // 00000000A288: 7F1E118F
	v_perm_b32 v131, v141, v140, s53                           // 00000000A28C: D1ED0083 00D7198D
	v_perm_b32 v131, v142, v131, s54                           // 00000000A294: D1ED0083 00DB078E
	v_perm_b32 v131, v143, v131, s55                           // 00000000A29C: D1ED0083 00DF078F
	v_mul_f32_e32 v144, v20, v144                              // 00000000A2A4: 0B212114
	v_mul_f32_e32 v145, v20, v145                              // 00000000A2A8: 0B232314
	v_mul_f32_e32 v146, v20, v146                              // 00000000A2AC: 0B252514
	v_mul_f32_e32 v147, v20, v147                              // 00000000A2B0: 0B272714
	v_cvt_i32_f32_e32 v144, v144                               // 00000000A2B4: 7F201190
	v_cvt_i32_f32_e32 v145, v145                               // 00000000A2B8: 7F221191
	v_cvt_i32_f32_e32 v146, v146                               // 00000000A2BC: 7F241192
	v_cvt_i32_f32_e32 v147, v147                               // 00000000A2C0: 7F261193
	v_perm_b32 v132, v145, v144, s53                           // 00000000A2C4: D1ED0084 00D72191
	v_perm_b32 v132, v146, v132, s54                           // 00000000A2CC: D1ED0084 00DB0992
	v_perm_b32 v132, v147, v132, s55                           // 00000000A2D4: D1ED0084 00DF0993
	v_mul_f32_e32 v148, v21, v148                              // 00000000A2DC: 0B292915
	v_mul_f32_e32 v149, v21, v149                              // 00000000A2E0: 0B2B2B15
	v_mul_f32_e32 v150, v21, v150                              // 00000000A2E4: 0B2D2D15
	v_mul_f32_e32 v151, v21, v151                              // 00000000A2E8: 0B2F2F15
	v_cvt_i32_f32_e32 v148, v148                               // 00000000A2EC: 7F281194
	v_cvt_i32_f32_e32 v149, v149                               // 00000000A2F0: 7F2A1195
	v_cvt_i32_f32_e32 v150, v150                               // 00000000A2F4: 7F2C1196
	v_cvt_i32_f32_e32 v151, v151                               // 00000000A2F8: 7F2E1197
	v_perm_b32 v133, v149, v148, s53                           // 00000000A2FC: D1ED0085 00D72995
	v_perm_b32 v133, v150, v133, s54                           // 00000000A304: D1ED0085 00DB0B96
	v_perm_b32 v133, v151, v133, s55                           // 00000000A30C: D1ED0085 00DF0B97
	v_mul_f32_e32 v152, v20, v152                              // 00000000A314: 0B313114
	v_mul_f32_e32 v153, v20, v153                              // 00000000A318: 0B333314
	v_mul_f32_e32 v154, v20, v154                              // 00000000A31C: 0B353514
	v_mul_f32_e32 v155, v20, v155                              // 00000000A320: 0B373714
	v_cvt_i32_f32_e32 v152, v152                               // 00000000A324: 7F301198
	v_cvt_i32_f32_e32 v153, v153                               // 00000000A328: 7F321199
	v_cvt_i32_f32_e32 v154, v154                               // 00000000A32C: 7F34119A
	v_cvt_i32_f32_e32 v155, v155                               // 00000000A330: 7F36119B
	v_perm_b32 v134, v153, v152, s53                           // 00000000A334: D1ED0086 00D73199
	v_perm_b32 v134, v154, v134, s54                           // 00000000A33C: D1ED0086 00DB0D9A
	v_perm_b32 v134, v155, v134, s55                           // 00000000A344: D1ED0086 00DF0D9B
	v_mul_f32_e32 v156, v21, v156                              // 00000000A34C: 0B393915
	v_mul_f32_e32 v157, v21, v157                              // 00000000A350: 0B3B3B15
	v_mul_f32_e32 v158, v21, v158                              // 00000000A354: 0B3D3D15
	v_mul_f32_e32 v159, v21, v159                              // 00000000A358: 0B3F3F15
	v_cvt_i32_f32_e32 v156, v156                               // 00000000A35C: 7F38119C
	v_cvt_i32_f32_e32 v157, v157                               // 00000000A360: 7F3A119D
	v_cvt_i32_f32_e32 v158, v158                               // 00000000A364: 7F3C119E
	v_cvt_i32_f32_e32 v159, v159                               // 00000000A368: 7F3E119F
	v_perm_b32 v135, v157, v156, s53                           // 00000000A36C: D1ED0087 00D7399D
	v_perm_b32 v135, v158, v135, s54                           // 00000000A374: D1ED0087 00DB0F9E
	v_perm_b32 v135, v159, v135, s55                           // 00000000A37C: D1ED0087 00DF0F9F
	v_rcp_f32_e32 v22, v20                                     // 00000000A384: 7E2C4514
	v_rcp_f32_e32 v23, v21                                     // 00000000A388: 7E2E4515
	v_lshrrev_b32_e32 v38, 5, v0                               // 00000000A38C: 204C0085
	v_lshlrev_b32_e32 v39, 5, v38                              // 00000000A390: 244E4C85
	v_and_b32_e32 v38, 31, v0                                  // 00000000A394: 264C009F
	v_lshrrev_b32_e32 v40, 4, v38                              // 00000000A398: 20504C84
	v_add_u32_e32 v39, v40, v39                                // 00000000A39C: 684E4F28
	v_and_b32_e32 v38, 15, v0                                  // 00000000A3A0: 264C008F
	v_lshlrev_b32_e32 v38, 1, v38                              // 00000000A3A4: 244C4C81
	v_add_u32_e32 v39, v38, v39                                // 00000000A3A8: 684E4F26
	v_lshlrev_b32_e32 v38, 2, v39                              // 00000000A3AC: 244C4E82
	s_mul_i32 s60, 0x100, s5                                   // 00000000A3B0: 923C05FF 00000100
	v_add_u32_e64 v38, v38, s60                                // 00000000A3B8: D1340026 00007926
	ds_write_b32 v38, v128 offset:2048                         // 00000000A3C0: D81A0800 00008026
	ds_write_b32 v38, v129 offset:6144                         // 00000000A3C8: D81A1800 00008126
	ds_write_b32 v38, v130 offset:3072                         // 00000000A3D0: D81A0C00 00008226
	ds_write_b32 v38, v131 offset:7168                         // 00000000A3D8: D81A1C00 00008326
	ds_write_b32 v38, v132 offset:4096                         // 00000000A3E0: D81A1000 00008426
	ds_write_b32 v38, v133 offset:8192                         // 00000000A3E8: D81A2000 00008526
	ds_write_b32 v38, v134 offset:5120                         // 00000000A3F0: D81A1400 00008626
	ds_write_b32 v38, v135 offset:9216                         // 00000000A3F8: D81A2400 00008726
	s_waitcnt lgkmcnt(0)                                       // 00000000A400: BF8CC07F
	s_barrier                                                  // 00000000A404: BF8A0000
	v_lshrrev_b32_e32 v38, 4, v0                               // 00000000A408: 204C0084
	v_lshlrev_b32_e32 v39, 6, v38                              // 00000000A40C: 244E4C86
	v_and_b32_e32 v38, 15, v0                                  // 00000000A410: 264C008F
	v_lshlrev_b32_e32 v38, 1, v38                              // 00000000A414: 244C4C81
	v_add_u32_e32 v39, v38, v39                                // 00000000A418: 684E4F26
	v_lshlrev_b32_e32 v38, 2, v39                              // 00000000A41C: 244C4E82
	ds_read_b64 v[128:129], v38 offset:2048                    // 00000000A420: D8EC0800 80000026
	ds_read_b64 v[130:131], v38 offset:2176                    // 00000000A428: D8EC0880 82000026
	ds_read_b64 v[132:133], v38 offset:3072                    // 00000000A430: D8EC0C00 84000026
	ds_read_b64 v[134:135], v38 offset:3200                    // 00000000A438: D8EC0C80 86000026
	ds_read_b64 v[136:137], v38 offset:4096                    // 00000000A440: D8EC1000 88000026
	ds_read_b64 v[138:139], v38 offset:4224                    // 00000000A448: D8EC1080 8A000026
	ds_read_b64 v[140:141], v38 offset:5120                    // 00000000A450: D8EC1400 8C000026
	ds_read_b64 v[142:143], v38 offset:5248                    // 00000000A458: D8EC1480 8E000026
	ds_read_b64 v[144:145], v38 offset:6144                    // 00000000A460: D8EC1800 90000026
	ds_read_b64 v[146:147], v38 offset:6272                    // 00000000A468: D8EC1880 92000026
	ds_read_b64 v[148:149], v38 offset:7168                    // 00000000A470: D8EC1C00 94000026
	ds_read_b64 v[150:151], v38 offset:7296                    // 00000000A478: D8EC1C80 96000026
	ds_read_b64 v[152:153], v38 offset:8192                    // 00000000A480: D8EC2000 98000026
	ds_read_b64 v[154:155], v38 offset:8320                    // 00000000A488: D8EC2080 9A000026
	ds_read_b64 v[156:157], v38 offset:9216                    // 00000000A490: D8EC2400 9C000026
	ds_read_b64 v[158:159], v38 offset:9344                    // 00000000A498: D8EC2480 9E000026
	s_add_u32 s12, s56, s12                                    // 00000000A4A0: 800C0C38
	s_addc_u32 s13, 0, s13                                     // 00000000A4A4: 820D0D80
	s_add_u32 s16, s79, s16                                    // 00000000A4A8: 8010104F
	s_addc_u32 s17, 0, s17                                     // 00000000A4AC: 82111180
	s_waitcnt lgkmcnt(0)                                       // 00000000A4B0: BF8CC07F
	s_barrier                                                  // 00000000A4B4: BF8A0000
	v_mov_b32_e32 v160, 0                                      // 00000000A4B8: 7F400280
	v_mov_b32_e32 v192, 0                                      // 00000000A4BC: 7F800280
	v_mov_b32_e32 v161, 0                                      // 00000000A4C0: 7F420280
	v_mov_b32_e32 v193, 0                                      // 00000000A4C4: 7F820280
	v_mov_b32_e32 v162, 0                                      // 00000000A4C8: 7F440280
	v_mov_b32_e32 v194, 0                                      // 00000000A4CC: 7F840280
	v_mov_b32_e32 v163, 0                                      // 00000000A4D0: 7F460280
	v_mov_b32_e32 v195, 0                                      // 00000000A4D4: 7F860280
	v_mov_b32_e32 v164, 0                                      // 00000000A4D8: 7F480280
	v_mov_b32_e32 v196, 0                                      // 00000000A4DC: 7F880280
	v_mov_b32_e32 v165, 0                                      // 00000000A4E0: 7F4A0280
	v_mov_b32_e32 v197, 0                                      // 00000000A4E4: 7F8A0280
	v_mov_b32_e32 v166, 0                                      // 00000000A4E8: 7F4C0280
	v_mov_b32_e32 v198, 0                                      // 00000000A4EC: 7F8C0280
	v_mov_b32_e32 v167, 0                                      // 00000000A4F0: 7F4E0280
	v_mov_b32_e32 v199, 0                                      // 00000000A4F4: 7F8E0280
	v_mov_b32_e32 v168, 0                                      // 00000000A4F8: 7F500280
	v_mov_b32_e32 v200, 0                                      // 00000000A4FC: 7F900280
	v_mov_b32_e32 v169, 0                                      // 00000000A500: 7F520280
	v_mov_b32_e32 v201, 0                                      // 00000000A504: 7F920280
	v_mov_b32_e32 v170, 0                                      // 00000000A508: 7F540280
	v_mov_b32_e32 v202, 0                                      // 00000000A50C: 7F940280
	v_mov_b32_e32 v171, 0                                      // 00000000A510: 7F560280
	v_mov_b32_e32 v203, 0                                      // 00000000A514: 7F960280
	v_mov_b32_e32 v172, 0                                      // 00000000A518: 7F580280
	v_mov_b32_e32 v204, 0                                      // 00000000A51C: 7F980280
	v_mov_b32_e32 v173, 0                                      // 00000000A520: 7F5A0280
	v_mov_b32_e32 v205, 0                                      // 00000000A524: 7F9A0280
	v_mov_b32_e32 v174, 0                                      // 00000000A528: 7F5C0280
	v_mov_b32_e32 v206, 0                                      // 00000000A52C: 7F9C0280
	v_mov_b32_e32 v175, 0                                      // 00000000A530: 7F5E0280
	v_mov_b32_e32 v207, 0                                      // 00000000A534: 7F9E0280
	ds_write_b64 v3, v[160:161] offset:2048                    // 00000000A538: D89A0800 0000A003
	ds_write_b64 v3, v[162:163] offset:10752                   // 00000000A540: D89A2A00 0000A203
	ds_write_b64 v3, v[164:165] offset:4224                    // 00000000A548: D89A1080 0000A403
	ds_write_b64 v3, v[166:167] offset:12928                   // 00000000A550: D89A3280 0000A603
	ds_write_b64 v3, v[168:169] offset:6400                    // 00000000A558: D89A1900 0000A803
	ds_write_b64 v3, v[170:171] offset:15104                   // 00000000A560: D89A3B00 0000AA03
	ds_write_b64 v3, v[172:173] offset:8576                    // 00000000A568: D89A2180 0000AC03
	ds_write_b64 v3, v[174:175] offset:17280                   // 00000000A570: D89A4380 0000AE03
	s_mov_b32 s80, 0                                           // 00000000A578: BED00080
	s_waitcnt vmcnt(0) expcnt(0) lgkmcnt(0)                    // 00000000A57C: BF8C0000

000000000000a580 <label_1DE0>:
	s_waitcnt vmcnt(13) lgkmcnt(0)                             // 00000000A580: BF8C007D
	s_barrier                                                  // 00000000A584: BF8A0000
	v_mfma_i32_16x16x32_i8 v[160:163], a[0:1], v[128:129], 0   // 00000000A588: D3D700A0 0A030100
	buffer_load_dwordx4 a[64:67], v42, s[12:15], 0 offen       // 00000000A590: E05C1000 8083402A
	v_mfma_i32_16x16x32_i8 v[160:163], a[2:3], v[130:131], v[160:163]// 00000000A598: D3D700A0 0E830502
	ds_read_b32 v64, v4 offset:2048                            // 00000000A5A0: D86C0800 40000004
	ds_read_b32 v65, v4 offset:6400                            // 00000000A5A8: D86C1900 41000004
	v_mfma_i32_16x16x32_i8 v[164:167], a[0:1], v[144:145], 0   // 00000000A5B0: D3D700A4 0A032100
	v_mfma_i32_16x16x32_i8 v[164:167], a[2:3], v[146:147], v[164:167]// 00000000A5B8: D3D700A4 0E932502
	ds_read_b32 v66, v4 offset:2080                            // 00000000A5C0: D86C0820 42000004
	ds_read_b32 v67, v4 offset:6432                            // 00000000A5C8: D86C1920 43000004
	v_mfma_i32_16x16x32_i8 v[168:171], a[4:5], v[128:129], 0   // 00000000A5D0: D3D700A8 0A030104
	buffer_load_dwordx4 a[68:71], v43, s[12:15], 0 offen       // 00000000A5D8: E05C1000 8083442B
	v_mfma_i32_16x16x32_i8 v[168:171], a[6:7], v[130:131], v[168:171]// 00000000A5E0: D3D700A8 0EA30506
	ds_read_b32 v68, v4 offset:2112                            // 00000000A5E8: D86C0840 44000004
	ds_read_b32 v69, v4 offset:6464                            // 00000000A5F0: D86C1940 45000004
	v_mfma_i32_16x16x32_i8 v[172:175], a[4:5], v[144:145], 0   // 00000000A5F8: D3D700AC 0A032104
	v_mfma_i32_16x16x32_i8 v[172:175], a[6:7], v[146:147], v[172:175]// 00000000A600: D3D700AC 0EB32506
	ds_read_b32 v70, v4 offset:2144                            // 00000000A608: D86C0860 46000004
	ds_read_b32 v71, v4 offset:6496                            // 00000000A610: D86C1960 47000004
	v_mfma_i32_16x16x32_i8 v[176:179], a[8:9], v[128:129], 0   // 00000000A618: D3D700B0 0A030108
	buffer_load_dwordx4 a[72:75], v44, s[12:15], 0 offen       // 00000000A620: E05C1000 8083482C
	v_mfma_i32_16x16x32_i8 v[176:179], a[10:11], v[130:131], v[176:179]// 00000000A628: D3D700B0 0EC3050A
	ds_read_b32 v72, v4 offset:10752                           // 00000000A630: D86C2A00 48000004
	ds_read_b32 v73, v4 offset:15104                           // 00000000A638: D86C3B00 49000004
	v_mfma_i32_16x16x32_i8 v[180:183], a[8:9], v[144:145], 0   // 00000000A640: D3D700B4 0A032108
	v_mfma_i32_16x16x32_i8 v[180:183], a[10:11], v[146:147], v[180:183]// 00000000A648: D3D700B4 0ED3250A
	ds_read_b32 v74, v4 offset:10784                           // 00000000A650: D86C2A20 4A000004
	ds_read_b32 v75, v4 offset:15136                           // 00000000A658: D86C3B20 4B000004
	v_mfma_i32_16x16x32_i8 v[184:187], a[12:13], v[128:129], 0 // 00000000A660: D3D700B8 0A03010C
	buffer_load_dwordx4 a[76:79], v45, s[12:15], 0 offen       // 00000000A668: E05C1000 80834C2D
	s_add_u32 s12, s78, s12                                    // 00000000A670: 800C0C4E
	s_addc_u32 s13, 0, s13                                     // 00000000A674: 820D0D80
	v_mfma_i32_16x16x32_i8 v[184:187], a[14:15], v[130:131], v[184:187]// 00000000A678: D3D700B8 0EE3050E
	ds_read_b32 v76, v4 offset:10816                           // 00000000A680: D86C2A40 4C000004
	ds_read_b32 v77, v4 offset:15168                           // 00000000A688: D86C3B40 4D000004
	v_mfma_i32_16x16x32_i8 v[188:191], a[12:13], v[144:145], 0 // 00000000A690: D3D700BC 0A03210C
	v_mfma_i32_16x16x32_i8 v[188:191], a[14:15], v[146:147], v[188:191]// 00000000A698: D3D700BC 0EF3250E
	ds_read_b32 v78, v4 offset:10848                           // 00000000A6A0: D86C2A60 4E000004
	ds_read_b32 v79, v4 offset:15200                           // 00000000A6A8: D86C3B60 4F000004
	s_waitcnt vmcnt(13)                                        // 00000000A6B0: BF8C0F7D
	v_mfma_i32_16x16x32_i8 v[160:163], a[16:17], v[132:133], v[160:163]// 00000000A6B4: D3D700A0 0E830910
	buffer_load_dwordx4 a[80:83], v42, s[12:15], 0 offen       // 00000000A6BC: E05C1000 8083502A
	v_mfma_i32_16x16x32_i8 v[160:163], a[18:19], v[134:135], v[160:163]// 00000000A6C4: D3D700A0 0E830D12
	v_mfma_i32_16x16x32_i8 v[164:167], a[16:17], v[148:149], v[164:167]// 00000000A6CC: D3D700A4 0E932910
	v_mfma_i32_16x16x32_i8 v[164:167], a[18:19], v[150:151], v[164:167]// 00000000A6D4: D3D700A4 0E932D12
	v_mfma_i32_16x16x32_i8 v[168:171], a[20:21], v[132:133], v[168:171]// 00000000A6DC: D3D700A8 0EA30914
	buffer_load_dwordx4 a[84:87], v43, s[12:15], 0 offen       // 00000000A6E4: E05C1000 8083542B
	v_mfma_i32_16x16x32_i8 v[168:171], a[22:23], v[134:135], v[168:171]// 00000000A6EC: D3D700A8 0EA30D16
	v_mfma_i32_16x16x32_i8 v[172:175], a[20:21], v[148:149], v[172:175]// 00000000A6F4: D3D700AC 0EB32914
	v_mfma_i32_16x16x32_i8 v[172:175], a[22:23], v[150:151], v[172:175]// 00000000A6FC: D3D700AC 0EB32D16
	v_mfma_i32_16x16x32_i8 v[176:179], a[24:25], v[132:133], v[176:179]// 00000000A704: D3D700B0 0EC30918
	buffer_load_dwordx4 a[88:91], v44, s[12:15], 0 offen       // 00000000A70C: E05C1000 8083582C
	v_mfma_i32_16x16x32_i8 v[176:179], a[26:27], v[134:135], v[176:179]// 00000000A714: D3D700B0 0EC30D1A
	v_mfma_i32_16x16x32_i8 v[180:183], a[24:25], v[148:149], v[180:183]// 00000000A71C: D3D700B4 0ED32918
	v_mfma_i32_16x16x32_i8 v[180:183], a[26:27], v[150:151], v[180:183]// 00000000A724: D3D700B4 0ED32D1A
	v_mfma_i32_16x16x32_i8 v[184:187], a[28:29], v[132:133], v[184:187]// 00000000A72C: D3D700B8 0EE3091C
	buffer_load_dwordx4 a[92:95], v45, s[12:15], 0 offen       // 00000000A734: E05C1000 80835C2D
	s_add_u32 s12, s78, s12                                    // 00000000A73C: 800C0C4E
	s_addc_u32 s13, 0, s13                                     // 00000000A740: 820D0D80
	v_mfma_i32_16x16x32_i8 v[184:187], a[30:31], v[134:135], v[184:187]// 00000000A744: D3D700B8 0EE30D1E
	v_mfma_i32_16x16x32_i8 v[188:191], a[28:29], v[148:149], v[188:191]// 00000000A74C: D3D700BC 0EF3291C
	v_mfma_i32_16x16x32_i8 v[188:191], a[30:31], v[150:151], v[188:191]// 00000000A754: D3D700BC 0EF32D1E
	s_waitcnt vmcnt(13)                                        // 00000000A75C: BF8C0F7D
	v_mfma_i32_16x16x32_i8 v[160:163], a[32:33], v[136:137], v[160:163]// 00000000A760: D3D700A0 0E831120
	buffer_load_dwordx4 a[96:99], v42, s[12:15], 0 offen       // 00000000A768: E05C1000 8083602A
	v_mfma_i32_16x16x32_i8 v[160:163], a[34:35], v[138:139], v[160:163]// 00000000A770: D3D700A0 0E831522
	ds_write_b64 v3, v[192:193] offset:19456                   // 00000000A778: D89A4C00 0000C003
	v_mfma_i32_16x16x32_i8 v[164:167], a[32:33], v[152:153], v[164:167]// 00000000A780: D3D700A4 0E933120
	v_mfma_i32_16x16x32_i8 v[164:167], a[34:35], v[154:155], v[164:167]// 00000000A788: D3D700A4 0E933522
	ds_write_b64 v3, v[194:195] offset:28160                   // 00000000A790: D89A6E00 0000C203
	v_mfma_i32_16x16x32_i8 v[168:171], a[36:37], v[136:137], v[168:171]// 00000000A798: D3D700A8 0EA31124
	buffer_load_dwordx4 a[100:103], v43, s[12:15], 0 offen     // 00000000A7A0: E05C1000 8083642B
	v_mfma_i32_16x16x32_i8 v[168:171], a[38:39], v[138:139], v[168:171]// 00000000A7A8: D3D700A8 0EA31526
	ds_write_b64 v3, v[196:197] offset:21632                   // 00000000A7B0: D89A5480 0000C403
	v_mfma_i32_16x16x32_i8 v[172:175], a[36:37], v[152:153], v[172:175]// 00000000A7B8: D3D700AC 0EB33124
	v_mfma_i32_16x16x32_i8 v[172:175], a[38:39], v[154:155], v[172:175]// 00000000A7C0: D3D700AC 0EB33526
	ds_write_b64 v3, v[198:199] offset:30336                   // 00000000A7C8: D89A7680 0000C603
	v_mfma_i32_16x16x32_i8 v[176:179], a[40:41], v[136:137], v[176:179]// 00000000A7D0: D3D700B0 0EC31128
	buffer_load_dwordx4 a[104:107], v44, s[12:15], 0 offen     // 00000000A7D8: E05C1000 8083682C
	v_mfma_i32_16x16x32_i8 v[176:179], a[42:43], v[138:139], v[176:179]// 00000000A7E0: D3D700B0 0EC3152A
	ds_write_b64 v3, v[200:201] offset:23808                   // 00000000A7E8: D89A5D00 0000C803
	v_mfma_i32_16x16x32_i8 v[180:183], a[40:41], v[152:153], v[180:183]// 00000000A7F0: D3D700B4 0ED33128
	v_mfma_i32_16x16x32_i8 v[180:183], a[42:43], v[154:155], v[180:183]// 00000000A7F8: D3D700B4 0ED3352A
	ds_write_b64 v3, v[202:203] offset:32512                   // 00000000A800: D89A7F00 0000CA03
	v_mfma_i32_16x16x32_i8 v[184:187], a[44:45], v[136:137], v[184:187]// 00000000A808: D3D700B8 0EE3112C
	buffer_load_dwordx4 a[108:111], v45, s[12:15], 0 offen     // 00000000A810: E05C1000 80836C2D
	s_add_u32 s12, s78, s12                                    // 00000000A818: 800C0C4E
	s_addc_u32 s13, 0, s13                                     // 00000000A81C: 820D0D80
	v_mfma_i32_16x16x32_i8 v[184:187], a[46:47], v[138:139], v[184:187]// 00000000A820: D3D700B8 0EE3152E
	ds_write_b64 v3, v[204:205] offset:25984                   // 00000000A828: D89A6580 0000CC03
	v_mfma_i32_16x16x32_i8 v[188:191], a[44:45], v[152:153], v[188:191]// 00000000A830: D3D700BC 0EF3312C
	v_mfma_i32_16x16x32_i8 v[188:191], a[46:47], v[154:155], v[188:191]// 00000000A838: D3D700BC 0EF3352E
	ds_write_b64 v3, v[206:207] offset:34688                   // 00000000A840: D89A8780 0000CE03
	s_waitcnt vmcnt(12)                                        // 00000000A848: BF8C0F7C
	v_mfma_i32_16x16x32_i8 v[160:163], a[48:49], v[140:141], v[160:163]// 00000000A84C: D3D700A0 0E831930
	buffer_load_dwordx4 a[112:115], v42, s[12:15], 0 offen     // 00000000A854: E05C1000 8083702A
	v_mfma_i32_16x16x32_i8 v[160:163], a[50:51], v[142:143], v[160:163]// 00000000A85C: D3D700A0 0E831D32
	v_mfma_i32_16x16x32_i8 v[164:167], a[48:49], v[156:157], v[164:167]// 00000000A864: D3D700A4 0E933930
	buffer_load_dword v12, v5, s[16:19], 0 offen               // 00000000A86C: E0501000 80040C05
	v_mfma_i32_16x16x32_i8 v[164:167], a[50:51], v[158:159], v[164:167]// 00000000A874: D3D700A4 0E933D32
	v_mfma_i32_16x16x32_i8 v[168:171], a[52:53], v[140:141], v[168:171]// 00000000A87C: D3D700A8 0EA31934
	buffer_load_dwordx4 a[116:119], v43, s[12:15], 0 offen     // 00000000A884: E05C1000 8083742B
	v_mfma_i32_16x16x32_i8 v[168:171], a[54:55], v[142:143], v[168:171]// 00000000A88C: D3D700A8 0EA31D36
	v_mfma_i32_16x16x32_i8 v[172:175], a[52:53], v[156:157], v[172:175]// 00000000A894: D3D700AC 0EB33934
	v_mfma_i32_16x16x32_i8 v[172:175], a[54:55], v[158:159], v[172:175]// 00000000A89C: D3D700AC 0EB33D36
	v_mfma_i32_16x16x32_i8 v[176:179], a[56:57], v[140:141], v[176:179]// 00000000A8A4: D3D700B0 0EC31938
	buffer_load_dwordx4 a[120:123], v44, s[12:15], 0 offen     // 00000000A8AC: E05C1000 8083782C
	v_mfma_i32_16x16x32_i8 v[176:179], a[58:59], v[142:143], v[176:179]// 00000000A8B4: D3D700B0 0EC31D3A
	v_mfma_i32_16x16x32_i8 v[180:183], a[56:57], v[156:157], v[180:183]// 00000000A8BC: D3D700B4 0ED33938
	v_mfma_i32_16x16x32_i8 v[180:183], a[58:59], v[158:159], v[180:183]// 00000000A8C4: D3D700B4 0ED33D3A
	v_mfma_i32_16x16x32_i8 v[184:187], a[60:61], v[140:141], v[184:187]// 00000000A8CC: D3D700B8 0EE3193C
	buffer_load_dwordx4 a[124:127], v45, s[12:15], 0 offen     // 00000000A8D4: E05C1000 80837C2D
	v_mfma_i32_16x16x32_i8 v[184:187], a[62:63], v[142:143], v[184:187]// 00000000A8DC: D3D700B8 0EE31D3E
	v_mfma_i32_16x16x32_i8 v[188:191], a[60:61], v[156:157], v[188:191]// 00000000A8E4: D3D700BC 0EF3393C
	v_mfma_i32_16x16x32_i8 v[188:191], a[62:63], v[158:159], v[188:191]// 00000000A8EC: D3D700BC 0EF33D3E
	s_add_u32 s60, 0x200, s80                                  // 00000000A8F4: 803C50FF 00000200
	s_cmp_lt_u32 s60, s81                                      // 00000000A8FC: BF0A513C
	s_cselect_b32 s56, s56, 0                                  // 00000000A900: 85388038
	s_cselect_b32 s78, s78, 0                                  // 00000000A904: 854E804E
	s_cselect_b32 s79, s79, 0                                  // 00000000A908: 854F804F
	s_add_u32 s12, s56, s12                                    // 00000000A90C: 800C0C38
	s_addc_u32 s13, 0, s13                                     // 00000000A910: 820D0D80
	s_add_u32 s16, s79, s16                                    // 00000000A914: 8010104F
	s_addc_u32 s17, 0, s17                                     // 00000000A918: 82111180
	v_mov_b32_e32 v38, v22                                     // 00000000A91C: 7E4C0316
	v_mov_b32_e32 v40, v17                                     // 00000000A920: 7E500311
	v_mov_b32_e32 v39, v38                                     // 00000000A924: 7E4E0326
	v_mov_b32_e32 v41, v40                                     // 00000000A928: 7E520328
	v_cvt_f32_i32_e32 v160, v160                               // 00000000A92C: 7F400BA0
	v_cvt_f32_i32_e32 v161, v161                               // 00000000A930: 7F420BA1
	v_cvt_f32_i32_e32 v162, v162                               // 00000000A934: 7F440BA2
	v_cvt_f32_i32_e32 v163, v163                               // 00000000A938: 7F460BA3
	v_pk_mul_f32 v[160:161], v[38:39], v[160:161]              // 00000000A93C: D3B140A0 18034126
	v_pk_mul_f32 v[162:163], v[38:39], v[162:163]              // 00000000A944: D3B140A2 18034526
	v_mul_f32_dpp v160, v11, v160 row_newbcast:0 row_mask:0xf bank_mask:0xf// 00000000A94C: 0B4140FA FF01500B
	v_mul_f32_dpp v161, v11, v161 row_newbcast:1 row_mask:0xf bank_mask:0xf// 00000000A954: 0B4342FA FF01510B
	v_mul_f32_dpp v162, v11, v162 row_newbcast:2 row_mask:0xf bank_mask:0xf// 00000000A95C: 0B4544FA FF01520B
	v_mul_f32_dpp v163, v11, v163 row_newbcast:3 row_mask:0xf bank_mask:0xf// 00000000A964: 0B4746FA FF01530B
	v_pk_mul_f32 v[160:161], v[40:41], v[160:161]              // 00000000A96C: D3B140A0 18034128
	v_pk_mul_f32 v[162:163], v[40:41], v[162:163]              // 00000000A974: D3B140A2 18034528
	v_cvt_f32_i32_e32 v168, v168                               // 00000000A97C: 7F500BA8
	v_cvt_f32_i32_e32 v169, v169                               // 00000000A980: 7F520BA9
	v_cvt_f32_i32_e32 v170, v170                               // 00000000A984: 7F540BAA
	v_cvt_f32_i32_e32 v171, v171                               // 00000000A988: 7F560BAB
	v_pk_mul_f32 v[168:169], v[38:39], v[168:169]              // 00000000A98C: D3B140A8 18035126
	v_pk_mul_f32 v[170:171], v[38:39], v[170:171]              // 00000000A994: D3B140AA 18035526
	v_mul_f32_dpp v168, v11, v168 row_newbcast:4 row_mask:0xf bank_mask:0xf// 00000000A99C: 0B5150FA FF01540B
	v_mul_f32_dpp v169, v11, v169 row_newbcast:5 row_mask:0xf bank_mask:0xf// 00000000A9A4: 0B5352FA FF01550B
	v_mul_f32_dpp v170, v11, v170 row_newbcast:6 row_mask:0xf bank_mask:0xf// 00000000A9AC: 0B5554FA FF01560B
	v_mul_f32_dpp v171, v11, v171 row_newbcast:7 row_mask:0xf bank_mask:0xf// 00000000A9B4: 0B5756FA FF01570B
	v_pk_mul_f32 v[168:169], v[40:41], v[168:169]              // 00000000A9BC: D3B140A8 18035128
	v_pk_mul_f32 v[170:171], v[40:41], v[170:171]              // 00000000A9C4: D3B140AA 18035528
	v_cvt_f32_i32_e32 v176, v176                               // 00000000A9CC: 7F600BB0
	v_cvt_f32_i32_e32 v177, v177                               // 00000000A9D0: 7F620BB1
	v_cvt_f32_i32_e32 v178, v178                               // 00000000A9D4: 7F640BB2
	v_cvt_f32_i32_e32 v179, v179                               // 00000000A9D8: 7F660BB3
	v_pk_mul_f32 v[176:177], v[38:39], v[176:177]              // 00000000A9DC: D3B140B0 18036126
	v_pk_mul_f32 v[178:179], v[38:39], v[178:179]              // 00000000A9E4: D3B140B2 18036526
	v_mul_f32_dpp v176, v11, v176 row_newbcast:8 row_mask:0xf bank_mask:0xf// 00000000A9EC: 0B6160FA FF01580B
	v_mul_f32_dpp v177, v11, v177 row_newbcast:9 row_mask:0xf bank_mask:0xf// 00000000A9F4: 0B6362FA FF01590B
	v_mul_f32_dpp v178, v11, v178 row_newbcast:10 row_mask:0xf bank_mask:0xf// 00000000A9FC: 0B6564FA FF015A0B
	v_mul_f32_dpp v179, v11, v179 row_newbcast:11 row_mask:0xf bank_mask:0xf// 00000000AA04: 0B6766FA FF015B0B
	v_pk_mul_f32 v[176:177], v[40:41], v[176:177]              // 00000000AA0C: D3B140B0 18036128
	v_pk_mul_f32 v[178:179], v[40:41], v[178:179]              // 00000000AA14: D3B140B2 18036528
	v_cvt_f32_i32_e32 v184, v184                               // 00000000AA1C: 7F700BB8
	v_cvt_f32_i32_e32 v185, v185                               // 00000000AA20: 7F720BB9
	v_cvt_f32_i32_e32 v186, v186                               // 00000000AA24: 7F740BBA
	v_cvt_f32_i32_e32 v187, v187                               // 00000000AA28: 7F760BBB
	v_pk_mul_f32 v[184:185], v[38:39], v[184:185]              // 00000000AA2C: D3B140B8 18037126
	v_pk_mul_f32 v[186:187], v[38:39], v[186:187]              // 00000000AA34: D3B140BA 18037526
	v_mul_f32_dpp v184, v11, v184 row_newbcast:12 row_mask:0xf bank_mask:0xf// 00000000AA3C: 0B7170FA FF015C0B
	v_mul_f32_dpp v185, v11, v185 row_newbcast:13 row_mask:0xf bank_mask:0xf// 00000000AA44: 0B7372FA FF015D0B
	v_mul_f32_dpp v186, v11, v186 row_newbcast:14 row_mask:0xf bank_mask:0xf// 00000000AA4C: 0B7574FA FF015E0B
	v_mul_f32_dpp v187, v11, v187 row_newbcast:15 row_mask:0xf bank_mask:0xf// 00000000AA54: 0B7776FA FF015F0B
	v_pk_mul_f32 v[184:185], v[40:41], v[184:185]              // 00000000AA5C: D3B140B8 18037128
	v_pk_mul_f32 v[186:187], v[40:41], v[186:187]              // 00000000AA64: D3B140BA 18037528
	v_mov_b32_e32 v38, v23                                     // 00000000AA6C: 7E4C0317
	v_mov_b32_e32 v40, v18                                     // 00000000AA70: 7E500312
	v_mov_b32_e32 v39, v38                                     // 00000000AA74: 7E4E0326
	v_mov_b32_e32 v41, v40                                     // 00000000AA78: 7E520328
	v_cvt_f32_i32_e32 v164, v164                               // 00000000AA7C: 7F480BA4
	v_cvt_f32_i32_e32 v165, v165                               // 00000000AA80: 7F4A0BA5
	v_cvt_f32_i32_e32 v166, v166                               // 00000000AA84: 7F4C0BA6
	v_cvt_f32_i32_e32 v167, v167                               // 00000000AA88: 7F4E0BA7
	v_pk_mul_f32 v[164:165], v[38:39], v[164:165]              // 00000000AA8C: D3B140A4 18034926
	v_pk_mul_f32 v[166:167], v[38:39], v[166:167]              // 00000000AA94: D3B140A6 18034D26
	v_mul_f32_dpp v164, v11, v164 row_newbcast:0 row_mask:0xf bank_mask:0xf// 00000000AA9C: 0B4948FA FF01500B
	v_mul_f32_dpp v165, v11, v165 row_newbcast:1 row_mask:0xf bank_mask:0xf// 00000000AAA4: 0B4B4AFA FF01510B
	v_mul_f32_dpp v166, v11, v166 row_newbcast:2 row_mask:0xf bank_mask:0xf// 00000000AAAC: 0B4D4CFA FF01520B
	v_mul_f32_dpp v167, v11, v167 row_newbcast:3 row_mask:0xf bank_mask:0xf// 00000000AAB4: 0B4F4EFA FF01530B
	v_pk_mul_f32 v[164:165], v[40:41], v[164:165]              // 00000000AABC: D3B140A4 18034928
	v_pk_mul_f32 v[166:167], v[40:41], v[166:167]              // 00000000AAC4: D3B140A6 18034D28
	v_cvt_f32_i32_e32 v172, v172                               // 00000000AACC: 7F580BAC
	v_cvt_f32_i32_e32 v173, v173                               // 00000000AAD0: 7F5A0BAD
	v_cvt_f32_i32_e32 v174, v174                               // 00000000AAD4: 7F5C0BAE
	v_cvt_f32_i32_e32 v175, v175                               // 00000000AAD8: 7F5E0BAF
	v_pk_mul_f32 v[172:173], v[38:39], v[172:173]              // 00000000AADC: D3B140AC 18035926
	v_pk_mul_f32 v[174:175], v[38:39], v[174:175]              // 00000000AAE4: D3B140AE 18035D26
	v_mul_f32_dpp v172, v11, v172 row_newbcast:4 row_mask:0xf bank_mask:0xf// 00000000AAEC: 0B5958FA FF01540B
	v_mul_f32_dpp v173, v11, v173 row_newbcast:5 row_mask:0xf bank_mask:0xf// 00000000AAF4: 0B5B5AFA FF01550B
	v_mul_f32_dpp v174, v11, v174 row_newbcast:6 row_mask:0xf bank_mask:0xf// 00000000AAFC: 0B5D5CFA FF01560B
	v_mul_f32_dpp v175, v11, v175 row_newbcast:7 row_mask:0xf bank_mask:0xf// 00000000AB04: 0B5F5EFA FF01570B
	v_pk_mul_f32 v[172:173], v[40:41], v[172:173]              // 00000000AB0C: D3B140AC 18035928
	v_pk_mul_f32 v[174:175], v[40:41], v[174:175]              // 00000000AB14: D3B140AE 18035D28
	v_cvt_f32_i32_e32 v180, v180                               // 00000000AB1C: 7F680BB4
	v_cvt_f32_i32_e32 v181, v181                               // 00000000AB20: 7F6A0BB5
	v_cvt_f32_i32_e32 v182, v182                               // 00000000AB24: 7F6C0BB6
	v_cvt_f32_i32_e32 v183, v183                               // 00000000AB28: 7F6E0BB7
	v_pk_mul_f32 v[180:181], v[38:39], v[180:181]              // 00000000AB2C: D3B140B4 18036926
	v_pk_mul_f32 v[182:183], v[38:39], v[182:183]              // 00000000AB34: D3B140B6 18036D26
	v_mul_f32_dpp v180, v11, v180 row_newbcast:8 row_mask:0xf bank_mask:0xf// 00000000AB3C: 0B6968FA FF01580B
	v_mul_f32_dpp v181, v11, v181 row_newbcast:9 row_mask:0xf bank_mask:0xf// 00000000AB44: 0B6B6AFA FF01590B
	v_mul_f32_dpp v182, v11, v182 row_newbcast:10 row_mask:0xf bank_mask:0xf// 00000000AB4C: 0B6D6CFA FF015A0B
	v_mul_f32_dpp v183, v11, v183 row_newbcast:11 row_mask:0xf bank_mask:0xf// 00000000AB54: 0B6F6EFA FF015B0B
	v_pk_mul_f32 v[180:181], v[40:41], v[180:181]              // 00000000AB5C: D3B140B4 18036928
	v_pk_mul_f32 v[182:183], v[40:41], v[182:183]              // 00000000AB64: D3B140B6 18036D28
	v_cvt_f32_i32_e32 v188, v188                               // 00000000AB6C: 7F780BBC
	v_cvt_f32_i32_e32 v189, v189                               // 00000000AB70: 7F7A0BBD
	v_cvt_f32_i32_e32 v190, v190                               // 00000000AB74: 7F7C0BBE
	v_cvt_f32_i32_e32 v191, v191                               // 00000000AB78: 7F7E0BBF
	v_pk_mul_f32 v[188:189], v[38:39], v[188:189]              // 00000000AB7C: D3B140BC 18037926
	v_pk_mul_f32 v[190:191], v[38:39], v[190:191]              // 00000000AB84: D3B140BE 18037D26
	v_mul_f32_dpp v188, v11, v188 row_newbcast:12 row_mask:0xf bank_mask:0xf// 00000000AB8C: 0B7978FA FF015C0B
	v_mul_f32_dpp v189, v11, v189 row_newbcast:13 row_mask:0xf bank_mask:0xf// 00000000AB94: 0B7B7AFA FF015D0B
	v_mul_f32_dpp v190, v11, v190 row_newbcast:14 row_mask:0xf bank_mask:0xf// 00000000AB9C: 0B7D7CFA FF015E0B
	v_mul_f32_dpp v191, v11, v191 row_newbcast:15 row_mask:0xf bank_mask:0xf// 00000000ABA4: 0B7F7EFA FF015F0B
	v_pk_mul_f32 v[188:189], v[40:41], v[188:189]              // 00000000ABAC: D3B140BC 18037928
	v_pk_mul_f32 v[190:191], v[40:41], v[190:191]              // 00000000ABB4: D3B140BE 18037D28
	v_cvt_pkrtz_f16_f32 v160, v160, v161                       // 00000000ABBC: D29600A0 000343A0
	v_cvt_pkrtz_f16_f32 v161, v162, v163                       // 00000000ABC4: D29600A1 000347A2
	v_cvt_pkrtz_f16_f32 v162, v164, v165                       // 00000000ABCC: D29600A2 00034BA4
	v_cvt_pkrtz_f16_f32 v163, v166, v167                       // 00000000ABD4: D29600A3 00034FA6
	v_cvt_pkrtz_f16_f32 v164, v168, v169                       // 00000000ABDC: D29600A4 000353A8
	v_cvt_pkrtz_f16_f32 v165, v170, v171                       // 00000000ABE4: D29600A5 000357AA
	v_cvt_pkrtz_f16_f32 v166, v172, v173                       // 00000000ABEC: D29600A6 00035BAC
	v_cvt_pkrtz_f16_f32 v167, v174, v175                       // 00000000ABF4: D29600A7 00035FAE
	v_cvt_pkrtz_f16_f32 v168, v176, v177                       // 00000000ABFC: D29600A8 000363B0
	v_cvt_pkrtz_f16_f32 v169, v178, v179                       // 00000000AC04: D29600A9 000367B2
	v_cvt_pkrtz_f16_f32 v170, v180, v181                       // 00000000AC0C: D29600AA 00036BB4
	v_cvt_pkrtz_f16_f32 v171, v182, v183                       // 00000000AC14: D29600AB 00036FB6
	v_cvt_pkrtz_f16_f32 v172, v184, v185                       // 00000000AC1C: D29600AC 000373B8
	v_cvt_pkrtz_f16_f32 v173, v186, v187                       // 00000000AC24: D29600AD 000377BA
	v_cvt_pkrtz_f16_f32 v174, v188, v189                       // 00000000AC2C: D29600AE 00037BBC
	v_cvt_pkrtz_f16_f32 v175, v190, v191                       // 00000000AC34: D29600AF 00037FBE
	s_cmp_ge_u32 s80, 0x200                                    // 00000000AC3C: BF09FF50 00000200
	s_cselect_b32 s59, 0x200, s59                              // 00000000AC44: 853B3BFF 00000200
	s_setvskip s20, 0                                          // 00000000AC4C: BF108014
	global_atomic_pk_add_f16 v80, v64, s[8:9]                  // 00000000AC50: DD388000 00084050
	s_setvskip 0, 0                                            // 00000000AC58: BF108080
	s_setvskip s20, 0                                          // 00000000AC5C: BF108014
	global_atomic_pk_add_f16 v80, v65, s[8:9] offset:256       // 00000000AC60: DD388100 00084150
	s_setvskip 0, 0                                            // 00000000AC68: BF108080
	s_setvskip s20, 1                                          // 00000000AC6C: BF108114
	global_atomic_pk_add_f16 v82, v66, s[8:9]                  // 00000000AC70: DD388000 00084252
	s_setvskip 0, 0                                            // 00000000AC78: BF108080
	s_setvskip s20, 1                                          // 00000000AC7C: BF108114
	global_atomic_pk_add_f16 v82, v67, s[8:9] offset:256       // 00000000AC80: DD388100 00084352
	s_setvskip 0, 0                                            // 00000000AC88: BF108080
	s_setvskip s20, 2                                          // 00000000AC8C: BF108214
	global_atomic_pk_add_f16 v84, v68, s[8:9]                  // 00000000AC90: DD388000 00084454
	s_setvskip 0, 0                                            // 00000000AC98: BF108080
	s_setvskip s20, 2                                          // 00000000AC9C: BF108214
	global_atomic_pk_add_f16 v84, v69, s[8:9] offset:256       // 00000000ACA0: DD388100 00084554
	s_setvskip 0, 0                                            // 00000000ACA8: BF108080
	s_setvskip s20, 3                                          // 00000000ACAC: BF108314
	global_atomic_pk_add_f16 v86, v70, s[8:9]                  // 00000000ACB0: DD388000 00084656
	s_setvskip 0, 0                                            // 00000000ACB8: BF108080
	s_setvskip s20, 3                                          // 00000000ACBC: BF108314
	global_atomic_pk_add_f16 v86, v71, s[8:9] offset:256       // 00000000ACC0: DD388100 00084756
	s_setvskip 0, 0                                            // 00000000ACC8: BF108080
	s_setvskip s20, 4                                          // 00000000ACCC: BF108414
	global_atomic_pk_add_f16 v88, v72, s[8:9]                  // 00000000ACD0: DD388000 00084858
	s_setvskip 0, 0                                            // 00000000ACD8: BF108080
	s_setvskip s20, 4                                          // 00000000ACDC: BF108414
	global_atomic_pk_add_f16 v88, v73, s[8:9] offset:256       // 00000000ACE0: DD388100 00084958
	s_setvskip 0, 0                                            // 00000000ACE8: BF108080
	s_setvskip s20, 5                                          // 00000000ACEC: BF108514
	global_atomic_pk_add_f16 v90, v74, s[8:9]                  // 00000000ACF0: DD388000 00084A5A
	s_setvskip 0, 0                                            // 00000000ACF8: BF108080
	s_setvskip s20, 5                                          // 00000000ACFC: BF108514
	global_atomic_pk_add_f16 v90, v75, s[8:9] offset:256       // 00000000AD00: DD388100 00084B5A
	s_setvskip 0, 0                                            // 00000000AD08: BF108080
	s_setvskip s20, 6                                          // 00000000AD0C: BF108614
	global_atomic_pk_add_f16 v92, v76, s[8:9]                  // 00000000AD10: DD388000 00084C5C
	s_setvskip 0, 0                                            // 00000000AD18: BF108080
	s_setvskip s20, 6                                          // 00000000AD1C: BF108614
	global_atomic_pk_add_f16 v92, v77, s[8:9] offset:256       // 00000000AD20: DD388100 00084D5C
	s_setvskip 0, 0                                            // 00000000AD28: BF108080
	s_setvskip s20, 7                                          // 00000000AD2C: BF108714
	global_atomic_pk_add_f16 v94, v78, s[8:9]                  // 00000000AD30: DD388000 00084E5E
	s_setvskip 0, 0                                            // 00000000AD38: BF108080
	s_setvskip s20, 7                                          // 00000000AD3C: BF108714
	global_atomic_pk_add_f16 v94, v79, s[8:9] offset:256       // 00000000AD40: DD388100 00084F5E
	s_setvskip 0, 0                                            // 00000000AD48: BF108080
	s_add_u32 s8, s59, s8                                      // 00000000AD4C: 8008083B
	s_addc_u32 s9, 0, s9                                       // 00000000AD50: 82090980
	s_addk_i32 s80, 0x100                                      // 00000000AD54: B7500100
	s_cmp_lt_i32 s80, s81                                      // 00000000AD58: BF045150
	s_cbranch_scc0 label_12D0                                  // 00000000AD5C: BF84F2F8
	s_waitcnt vmcnt(13) lgkmcnt(0)                             // 00000000AD60: BF8C007D
	s_barrier                                                  // 00000000AD64: BF8A0000
	v_mfma_i32_16x16x32_i8 v[192:195], a[64:65], v[128:129], 0 // 00000000AD68: D3D700C0 0A030140
	buffer_load_dwordx4 a[0:3], v42, s[12:15], 0 offen         // 00000000AD70: E05C1000 8083002A
	v_mfma_i32_16x16x32_i8 v[192:195], a[66:67], v[130:131], v[192:195]// 00000000AD78: D3D700C0 0F030542
	ds_read_b32 v64, v4 offset:19456                           // 00000000AD80: D86C4C00 40000004
	ds_read_b32 v65, v4 offset:23808                           // 00000000AD88: D86C5D00 41000004
	v_mfma_i32_16x16x32_i8 v[196:199], a[64:65], v[144:145], 0 // 00000000AD90: D3D700C4 0A032140
	v_mfma_i32_16x16x32_i8 v[196:199], a[66:67], v[146:147], v[196:199]// 00000000AD98: D3D700C4 0F132542
	ds_read_b32 v66, v4 offset:19488                           // 00000000ADA0: D86C4C20 42000004
	ds_read_b32 v67, v4 offset:23840                           // 00000000ADA8: D86C5D20 43000004
	v_mfma_i32_16x16x32_i8 v[200:203], a[68:69], v[128:129], 0 // 00000000ADB0: D3D700C8 0A030144
	buffer_load_dwordx4 a[4:7], v43, s[12:15], 0 offen         // 00000000ADB8: E05C1000 8083042B
	v_mfma_i32_16x16x32_i8 v[200:203], a[70:71], v[130:131], v[200:203]// 00000000ADC0: D3D700C8 0F230546
	ds_read_b32 v68, v4 offset:19520                           // 00000000ADC8: D86C4C40 44000004
	ds_read_b32 v69, v4 offset:23872                           // 00000000ADD0: D86C5D40 45000004
	v_mfma_i32_16x16x32_i8 v[204:207], a[68:69], v[144:145], 0 // 00000000ADD8: D3D700CC 0A032144
	v_mfma_i32_16x16x32_i8 v[204:207], a[70:71], v[146:147], v[204:207]// 00000000ADE0: D3D700CC 0F332546
	ds_read_b32 v70, v4 offset:19552                           // 00000000ADE8: D86C4C60 46000004
	ds_read_b32 v71, v4 offset:23904                           // 00000000ADF0: D86C5D60 47000004
	v_mfma_i32_16x16x32_i8 v[208:211], a[72:73], v[128:129], 0 // 00000000ADF8: D3D700D0 0A030148
	buffer_load_dwordx4 a[8:11], v44, s[12:15], 0 offen        // 00000000AE00: E05C1000 8083082C
	v_mfma_i32_16x16x32_i8 v[208:211], a[74:75], v[130:131], v[208:211]// 00000000AE08: D3D700D0 0F43054A
	ds_read_b32 v72, v4 offset:28160                           // 00000000AE10: D86C6E00 48000004
	ds_read_b32 v73, v4 offset:32512                           // 00000000AE18: D86C7F00 49000004
	v_mfma_i32_16x16x32_i8 v[212:215], a[72:73], v[144:145], 0 // 00000000AE20: D3D700D4 0A032148
	v_mfma_i32_16x16x32_i8 v[212:215], a[74:75], v[146:147], v[212:215]// 00000000AE28: D3D700D4 0F53254A
	ds_read_b32 v74, v4 offset:28192                           // 00000000AE30: D86C6E20 4A000004
	ds_read_b32 v75, v4 offset:32544                           // 00000000AE38: D86C7F20 4B000004
	v_mfma_i32_16x16x32_i8 v[216:219], a[76:77], v[128:129], 0 // 00000000AE40: D3D700D8 0A03014C
	buffer_load_dwordx4 a[12:15], v45, s[12:15], 0 offen       // 00000000AE48: E05C1000 80830C2D
	s_add_u32 s12, s78, s12                                    // 00000000AE50: 800C0C4E
	s_addc_u32 s13, 0, s13                                     // 00000000AE54: 820D0D80
	v_mfma_i32_16x16x32_i8 v[216:219], a[78:79], v[130:131], v[216:219]// 00000000AE58: D3D700D8 0F63054E
	ds_read_b32 v76, v4 offset:28224                           // 00000000AE60: D86C6E40 4C000004
	ds_read_b32 v77, v4 offset:32576                           // 00000000AE68: D86C7F40 4D000004
	v_mfma_i32_16x16x32_i8 v[220:223], a[76:77], v[144:145], 0 // 00000000AE70: D3D700DC 0A03214C
	v_mfma_i32_16x16x32_i8 v[220:223], a[78:79], v[146:147], v[220:223]// 00000000AE78: D3D700DC 0F73254E
	ds_read_b32 v78, v4 offset:28256                           // 00000000AE80: D86C6E60 4E000004
	ds_read_b32 v79, v4 offset:32608                           // 00000000AE88: D86C7F60 4F000004
	s_waitcnt vmcnt(13)                                        // 00000000AE90: BF8C0F7D
	v_mfma_i32_16x16x32_i8 v[192:195], a[80:81], v[132:133], v[192:195]// 00000000AE94: D3D700C0 0F030950
	buffer_load_dwordx4 a[16:19], v42, s[12:15], 0 offen       // 00000000AE9C: E05C1000 8083102A
	v_mfma_i32_16x16x32_i8 v[192:195], a[82:83], v[134:135], v[192:195]// 00000000AEA4: D3D700C0 0F030D52
	v_mfma_i32_16x16x32_i8 v[196:199], a[80:81], v[148:149], v[196:199]// 00000000AEAC: D3D700C4 0F132950
	v_mfma_i32_16x16x32_i8 v[196:199], a[82:83], v[150:151], v[196:199]// 00000000AEB4: D3D700C4 0F132D52
	v_mfma_i32_16x16x32_i8 v[200:203], a[84:85], v[132:133], v[200:203]// 00000000AEBC: D3D700C8 0F230954
	buffer_load_dwordx4 a[20:23], v43, s[12:15], 0 offen       // 00000000AEC4: E05C1000 8083142B
	v_mfma_i32_16x16x32_i8 v[200:203], a[86:87], v[134:135], v[200:203]// 00000000AECC: D3D700C8 0F230D56
	v_mfma_i32_16x16x32_i8 v[204:207], a[84:85], v[148:149], v[204:207]// 00000000AED4: D3D700CC 0F332954
	v_mfma_i32_16x16x32_i8 v[204:207], a[86:87], v[150:151], v[204:207]// 00000000AEDC: D3D700CC 0F332D56
	v_mfma_i32_16x16x32_i8 v[208:211], a[88:89], v[132:133], v[208:211]// 00000000AEE4: D3D700D0 0F430958
	buffer_load_dwordx4 a[24:27], v44, s[12:15], 0 offen       // 00000000AEEC: E05C1000 8083182C
	v_mfma_i32_16x16x32_i8 v[208:211], a[90:91], v[134:135], v[208:211]// 00000000AEF4: D3D700D0 0F430D5A
	v_mfma_i32_16x16x32_i8 v[212:215], a[88:89], v[148:149], v[212:215]// 00000000AEFC: D3D700D4 0F532958
	v_mfma_i32_16x16x32_i8 v[212:215], a[90:91], v[150:151], v[212:215]// 00000000AF04: D3D700D4 0F532D5A
	v_mfma_i32_16x16x32_i8 v[216:219], a[92:93], v[132:133], v[216:219]// 00000000AF0C: D3D700D8 0F63095C
	buffer_load_dwordx4 a[28:31], v45, s[12:15], 0 offen       // 00000000AF14: E05C1000 80831C2D
	s_add_u32 s12, s78, s12                                    // 00000000AF1C: 800C0C4E
	s_addc_u32 s13, 0, s13                                     // 00000000AF20: 820D0D80
	v_mfma_i32_16x16x32_i8 v[216:219], a[94:95], v[134:135], v[216:219]// 00000000AF24: D3D700D8 0F630D5E
	v_mfma_i32_16x16x32_i8 v[220:223], a[92:93], v[148:149], v[220:223]// 00000000AF2C: D3D700DC 0F73295C
	v_mfma_i32_16x16x32_i8 v[220:223], a[94:95], v[150:151], v[220:223]// 00000000AF34: D3D700DC 0F732D5E
	s_waitcnt vmcnt(13)                                        // 00000000AF3C: BF8C0F7D
	v_mfma_i32_16x16x32_i8 v[192:195], a[96:97], v[136:137], v[192:195]// 00000000AF40: D3D700C0 0F031160
	buffer_load_dwordx4 a[32:35], v42, s[12:15], 0 offen       // 00000000AF48: E05C1000 8083202A
	v_mfma_i32_16x16x32_i8 v[192:195], a[98:99], v[138:139], v[192:195]// 00000000AF50: D3D700C0 0F031562
	ds_write_b64 v3, v[160:161] offset:2048                    // 00000000AF58: D89A0800 0000A003
	v_mfma_i32_16x16x32_i8 v[196:199], a[96:97], v[152:153], v[196:199]// 00000000AF60: D3D700C4 0F133160
	v_mfma_i32_16x16x32_i8 v[196:199], a[98:99], v[154:155], v[196:199]// 00000000AF68: D3D700C4 0F133562
	ds_write_b64 v3, v[162:163] offset:10752                   // 00000000AF70: D89A2A00 0000A203
	v_mfma_i32_16x16x32_i8 v[200:203], a[100:101], v[136:137], v[200:203]// 00000000AF78: D3D700C8 0F231164
	buffer_load_dwordx4 a[36:39], v43, s[12:15], 0 offen       // 00000000AF80: E05C1000 8083242B
	v_mfma_i32_16x16x32_i8 v[200:203], a[102:103], v[138:139], v[200:203]// 00000000AF88: D3D700C8 0F231566
	ds_write_b64 v3, v[164:165] offset:4224                    // 00000000AF90: D89A1080 0000A403
	v_mfma_i32_16x16x32_i8 v[204:207], a[100:101], v[152:153], v[204:207]// 00000000AF98: D3D700CC 0F333164
	v_mfma_i32_16x16x32_i8 v[204:207], a[102:103], v[154:155], v[204:207]// 00000000AFA0: D3D700CC 0F333566
	ds_write_b64 v3, v[166:167] offset:12928                   // 00000000AFA8: D89A3280 0000A603
	v_mfma_i32_16x16x32_i8 v[208:211], a[104:105], v[136:137], v[208:211]// 00000000AFB0: D3D700D0 0F431168
	buffer_load_dwordx4 a[40:43], v44, s[12:15], 0 offen       // 00000000AFB8: E05C1000 8083282C
	v_mfma_i32_16x16x32_i8 v[208:211], a[106:107], v[138:139], v[208:211]// 00000000AFC0: D3D700D0 0F43156A
	ds_write_b64 v3, v[168:169] offset:6400                    // 00000000AFC8: D89A1900 0000A803
	v_mfma_i32_16x16x32_i8 v[212:215], a[104:105], v[152:153], v[212:215]// 00000000AFD0: D3D700D4 0F533168
	v_mfma_i32_16x16x32_i8 v[212:215], a[106:107], v[154:155], v[212:215]// 00000000AFD8: D3D700D4 0F53356A
	ds_write_b64 v3, v[170:171] offset:15104                   // 00000000AFE0: D89A3B00 0000AA03
	v_mfma_i32_16x16x32_i8 v[216:219], a[108:109], v[136:137], v[216:219]// 00000000AFE8: D3D700D8 0F63116C
	buffer_load_dwordx4 a[44:47], v45, s[12:15], 0 offen       // 00000000AFF0: E05C1000 80832C2D
	s_add_u32 s12, s78, s12                                    // 00000000AFF8: 800C0C4E
	s_addc_u32 s13, 0, s13                                     // 00000000AFFC: 820D0D80
	v_mfma_i32_16x16x32_i8 v[216:219], a[110:111], v[138:139], v[216:219]// 00000000B000: D3D700D8 0F63156E
	ds_write_b64 v3, v[172:173] offset:8576                    // 00000000B008: D89A2180 0000AC03
	v_mfma_i32_16x16x32_i8 v[220:223], a[108:109], v[152:153], v[220:223]// 00000000B010: D3D700DC 0F73316C
	v_mfma_i32_16x16x32_i8 v[220:223], a[110:111], v[154:155], v[220:223]// 00000000B018: D3D700DC 0F73356E
	ds_write_b64 v3, v[174:175] offset:17280                   // 00000000B020: D89A4380 0000AE03
	s_waitcnt vmcnt(12)                                        // 00000000B028: BF8C0F7C
	v_mfma_i32_16x16x32_i8 v[192:195], a[112:113], v[140:141], v[192:195]// 00000000B02C: D3D700C0 0F031970
	buffer_load_dwordx4 a[48:51], v42, s[12:15], 0 offen       // 00000000B034: E05C1000 8083302A
	v_mfma_i32_16x16x32_i8 v[192:195], a[114:115], v[142:143], v[192:195]// 00000000B03C: D3D700C0 0F031D72
	v_mfma_i32_16x16x32_i8 v[196:199], a[112:113], v[156:157], v[196:199]// 00000000B044: D3D700C4 0F133970
	buffer_load_dword v11, v5, s[16:19], 0 offen               // 00000000B04C: E0501000 80040B05
	v_mfma_i32_16x16x32_i8 v[196:199], a[114:115], v[158:159], v[196:199]// 00000000B054: D3D700C4 0F133D72
	v_mfma_i32_16x16x32_i8 v[200:203], a[116:117], v[140:141], v[200:203]// 00000000B05C: D3D700C8 0F231974
	buffer_load_dwordx4 a[52:55], v43, s[12:15], 0 offen       // 00000000B064: E05C1000 8083342B
	v_mfma_i32_16x16x32_i8 v[200:203], a[118:119], v[142:143], v[200:203]// 00000000B06C: D3D700C8 0F231D76
	v_mfma_i32_16x16x32_i8 v[204:207], a[116:117], v[156:157], v[204:207]// 00000000B074: D3D700CC 0F333974
	v_mfma_i32_16x16x32_i8 v[204:207], a[118:119], v[158:159], v[204:207]// 00000000B07C: D3D700CC 0F333D76
	v_mfma_i32_16x16x32_i8 v[208:211], a[120:121], v[140:141], v[208:211]// 00000000B084: D3D700D0 0F431978
	buffer_load_dwordx4 a[56:59], v44, s[12:15], 0 offen       // 00000000B08C: E05C1000 8083382C
	v_mfma_i32_16x16x32_i8 v[208:211], a[122:123], v[142:143], v[208:211]// 00000000B094: D3D700D0 0F431D7A
	v_mfma_i32_16x16x32_i8 v[212:215], a[120:121], v[156:157], v[212:215]// 00000000B09C: D3D700D4 0F533978
	v_mfma_i32_16x16x32_i8 v[212:215], a[122:123], v[158:159], v[212:215]// 00000000B0A4: D3D700D4 0F533D7A
	v_mfma_i32_16x16x32_i8 v[216:219], a[124:125], v[140:141], v[216:219]// 00000000B0AC: D3D700D8 0F63197C
	buffer_load_dwordx4 a[60:63], v45, s[12:15], 0 offen       // 00000000B0B4: E05C1000 80833C2D
	v_mfma_i32_16x16x32_i8 v[216:219], a[126:127], v[142:143], v[216:219]// 00000000B0BC: D3D700D8 0F631D7E
	v_mfma_i32_16x16x32_i8 v[220:223], a[124:125], v[156:157], v[220:223]// 00000000B0C4: D3D700DC 0F73397C
	v_mfma_i32_16x16x32_i8 v[220:223], a[126:127], v[158:159], v[220:223]// 00000000B0CC: D3D700DC 0F733D7E
	s_add_u32 s60, 0x200, s80                                  // 00000000B0D4: 803C50FF 00000200
	s_cmp_lt_u32 s60, s81                                      // 00000000B0DC: BF0A513C
	s_cselect_b32 s56, s56, 0                                  // 00000000B0E0: 85388038
	s_cselect_b32 s78, s78, 0                                  // 00000000B0E4: 854E804E
	s_cselect_b32 s79, s79, 0                                  // 00000000B0E8: 854F804F
	s_add_u32 s12, s56, s12                                    // 00000000B0EC: 800C0C38
	s_addc_u32 s13, 0, s13                                     // 00000000B0F0: 820D0D80
	s_add_u32 s16, s79, s16                                    // 00000000B0F4: 8010104F
	s_addc_u32 s17, 0, s17                                     // 00000000B0F8: 82111180
	v_mov_b32_e32 v38, v22                                     // 00000000B0FC: 7E4C0316
	v_mov_b32_e32 v40, v17                                     // 00000000B100: 7E500311
	v_mov_b32_e32 v39, v38                                     // 00000000B104: 7E4E0326
	v_mov_b32_e32 v41, v40                                     // 00000000B108: 7E520328
	v_cvt_f32_i32_e32 v192, v192                               // 00000000B10C: 7F800BC0
	v_cvt_f32_i32_e32 v193, v193                               // 00000000B110: 7F820BC1
	v_cvt_f32_i32_e32 v194, v194                               // 00000000B114: 7F840BC2
	v_cvt_f32_i32_e32 v195, v195                               // 00000000B118: 7F860BC3
	v_pk_mul_f32 v[192:193], v[38:39], v[192:193]              // 00000000B11C: D3B140C0 18038126
	v_pk_mul_f32 v[194:195], v[38:39], v[194:195]              // 00000000B124: D3B140C2 18038526
	v_mul_f32_dpp v192, v12, v192 row_newbcast:0 row_mask:0xf bank_mask:0xf// 00000000B12C: 0B8180FA FF01500C
	v_mul_f32_dpp v193, v12, v193 row_newbcast:1 row_mask:0xf bank_mask:0xf// 00000000B134: 0B8382FA FF01510C
	v_mul_f32_dpp v194, v12, v194 row_newbcast:2 row_mask:0xf bank_mask:0xf// 00000000B13C: 0B8584FA FF01520C
	v_mul_f32_dpp v195, v12, v195 row_newbcast:3 row_mask:0xf bank_mask:0xf// 00000000B144: 0B8786FA FF01530C
	v_pk_mul_f32 v[192:193], v[40:41], v[192:193]              // 00000000B14C: D3B140C0 18038128
	v_pk_mul_f32 v[194:195], v[40:41], v[194:195]              // 00000000B154: D3B140C2 18038528
	v_cvt_f32_i32_e32 v200, v200                               // 00000000B15C: 7F900BC8
	v_cvt_f32_i32_e32 v201, v201                               // 00000000B160: 7F920BC9
	v_cvt_f32_i32_e32 v202, v202                               // 00000000B164: 7F940BCA
	v_cvt_f32_i32_e32 v203, v203                               // 00000000B168: 7F960BCB
	v_pk_mul_f32 v[200:201], v[38:39], v[200:201]              // 00000000B16C: D3B140C8 18039126
	v_pk_mul_f32 v[202:203], v[38:39], v[202:203]              // 00000000B174: D3B140CA 18039526
	v_mul_f32_dpp v200, v12, v200 row_newbcast:4 row_mask:0xf bank_mask:0xf// 00000000B17C: 0B9190FA FF01540C
	v_mul_f32_dpp v201, v12, v201 row_newbcast:5 row_mask:0xf bank_mask:0xf// 00000000B184: 0B9392FA FF01550C
	v_mul_f32_dpp v202, v12, v202 row_newbcast:6 row_mask:0xf bank_mask:0xf// 00000000B18C: 0B9594FA FF01560C
	v_mul_f32_dpp v203, v12, v203 row_newbcast:7 row_mask:0xf bank_mask:0xf// 00000000B194: 0B9796FA FF01570C
	v_pk_mul_f32 v[200:201], v[40:41], v[200:201]              // 00000000B19C: D3B140C8 18039128
	v_pk_mul_f32 v[202:203], v[40:41], v[202:203]              // 00000000B1A4: D3B140CA 18039528
	v_cvt_f32_i32_e32 v208, v208                               // 00000000B1AC: 7FA00BD0
	v_cvt_f32_i32_e32 v209, v209                               // 00000000B1B0: 7FA20BD1
	v_cvt_f32_i32_e32 v210, v210                               // 00000000B1B4: 7FA40BD2
	v_cvt_f32_i32_e32 v211, v211                               // 00000000B1B8: 7FA60BD3
	v_pk_mul_f32 v[208:209], v[38:39], v[208:209]              // 00000000B1BC: D3B140D0 1803A126
	v_pk_mul_f32 v[210:211], v[38:39], v[210:211]              // 00000000B1C4: D3B140D2 1803A526
	v_mul_f32_dpp v208, v12, v208 row_newbcast:8 row_mask:0xf bank_mask:0xf// 00000000B1CC: 0BA1A0FA FF01580C
	v_mul_f32_dpp v209, v12, v209 row_newbcast:9 row_mask:0xf bank_mask:0xf// 00000000B1D4: 0BA3A2FA FF01590C
	v_mul_f32_dpp v210, v12, v210 row_newbcast:10 row_mask:0xf bank_mask:0xf// 00000000B1DC: 0BA5A4FA FF015A0C
	v_mul_f32_dpp v211, v12, v211 row_newbcast:11 row_mask:0xf bank_mask:0xf// 00000000B1E4: 0BA7A6FA FF015B0C
	v_pk_mul_f32 v[208:209], v[40:41], v[208:209]              // 00000000B1EC: D3B140D0 1803A128
	v_pk_mul_f32 v[210:211], v[40:41], v[210:211]              // 00000000B1F4: D3B140D2 1803A528
	v_cvt_f32_i32_e32 v216, v216                               // 00000000B1FC: 7FB00BD8
	v_cvt_f32_i32_e32 v217, v217                               // 00000000B200: 7FB20BD9
	v_cvt_f32_i32_e32 v218, v218                               // 00000000B204: 7FB40BDA
	v_cvt_f32_i32_e32 v219, v219                               // 00000000B208: 7FB60BDB
	v_pk_mul_f32 v[216:217], v[38:39], v[216:217]              // 00000000B20C: D3B140D8 1803B126
	v_pk_mul_f32 v[218:219], v[38:39], v[218:219]              // 00000000B214: D3B140DA 1803B526
	v_mul_f32_dpp v216, v12, v216 row_newbcast:12 row_mask:0xf bank_mask:0xf// 00000000B21C: 0BB1B0FA FF015C0C
	v_mul_f32_dpp v217, v12, v217 row_newbcast:13 row_mask:0xf bank_mask:0xf// 00000000B224: 0BB3B2FA FF015D0C
	v_mul_f32_dpp v218, v12, v218 row_newbcast:14 row_mask:0xf bank_mask:0xf// 00000000B22C: 0BB5B4FA FF015E0C
	v_mul_f32_dpp v219, v12, v219 row_newbcast:15 row_mask:0xf bank_mask:0xf// 00000000B234: 0BB7B6FA FF015F0C
	v_pk_mul_f32 v[216:217], v[40:41], v[216:217]              // 00000000B23C: D3B140D8 1803B128
	v_pk_mul_f32 v[218:219], v[40:41], v[218:219]              // 00000000B244: D3B140DA 1803B528
	v_mov_b32_e32 v38, v23                                     // 00000000B24C: 7E4C0317
	v_mov_b32_e32 v40, v18                                     // 00000000B250: 7E500312
	v_mov_b32_e32 v39, v38                                     // 00000000B254: 7E4E0326
	v_mov_b32_e32 v41, v40                                     // 00000000B258: 7E520328
	v_cvt_f32_i32_e32 v196, v196                               // 00000000B25C: 7F880BC4
	v_cvt_f32_i32_e32 v197, v197                               // 00000000B260: 7F8A0BC5
	v_cvt_f32_i32_e32 v198, v198                               // 00000000B264: 7F8C0BC6
	v_cvt_f32_i32_e32 v199, v199                               // 00000000B268: 7F8E0BC7
	v_pk_mul_f32 v[196:197], v[38:39], v[196:197]              // 00000000B26C: D3B140C4 18038926
	v_pk_mul_f32 v[198:199], v[38:39], v[198:199]              // 00000000B274: D3B140C6 18038D26
	v_mul_f32_dpp v196, v12, v196 row_newbcast:0 row_mask:0xf bank_mask:0xf// 00000000B27C: 0B8988FA FF01500C
	v_mul_f32_dpp v197, v12, v197 row_newbcast:1 row_mask:0xf bank_mask:0xf// 00000000B284: 0B8B8AFA FF01510C
	v_mul_f32_dpp v198, v12, v198 row_newbcast:2 row_mask:0xf bank_mask:0xf// 00000000B28C: 0B8D8CFA FF01520C
	v_mul_f32_dpp v199, v12, v199 row_newbcast:3 row_mask:0xf bank_mask:0xf// 00000000B294: 0B8F8EFA FF01530C
	v_pk_mul_f32 v[196:197], v[40:41], v[196:197]              // 00000000B29C: D3B140C4 18038928
	v_pk_mul_f32 v[198:199], v[40:41], v[198:199]              // 00000000B2A4: D3B140C6 18038D28
	v_cvt_f32_i32_e32 v204, v204                               // 00000000B2AC: 7F980BCC
	v_cvt_f32_i32_e32 v205, v205                               // 00000000B2B0: 7F9A0BCD
	v_cvt_f32_i32_e32 v206, v206                               // 00000000B2B4: 7F9C0BCE
	v_cvt_f32_i32_e32 v207, v207                               // 00000000B2B8: 7F9E0BCF
	v_pk_mul_f32 v[204:205], v[38:39], v[204:205]              // 00000000B2BC: D3B140CC 18039926
	v_pk_mul_f32 v[206:207], v[38:39], v[206:207]              // 00000000B2C4: D3B140CE 18039D26
	v_mul_f32_dpp v204, v12, v204 row_newbcast:4 row_mask:0xf bank_mask:0xf// 00000000B2CC: 0B9998FA FF01540C
	v_mul_f32_dpp v205, v12, v205 row_newbcast:5 row_mask:0xf bank_mask:0xf// 00000000B2D4: 0B9B9AFA FF01550C
	v_mul_f32_dpp v206, v12, v206 row_newbcast:6 row_mask:0xf bank_mask:0xf// 00000000B2DC: 0B9D9CFA FF01560C
	v_mul_f32_dpp v207, v12, v207 row_newbcast:7 row_mask:0xf bank_mask:0xf// 00000000B2E4: 0B9F9EFA FF01570C
	v_pk_mul_f32 v[204:205], v[40:41], v[204:205]              // 00000000B2EC: D3B140CC 18039928
	v_pk_mul_f32 v[206:207], v[40:41], v[206:207]              // 00000000B2F4: D3B140CE 18039D28
	v_cvt_f32_i32_e32 v212, v212                               // 00000000B2FC: 7FA80BD4
	v_cvt_f32_i32_e32 v213, v213                               // 00000000B300: 7FAA0BD5
	v_cvt_f32_i32_e32 v214, v214                               // 00000000B304: 7FAC0BD6
	v_cvt_f32_i32_e32 v215, v215                               // 00000000B308: 7FAE0BD7
	v_pk_mul_f32 v[212:213], v[38:39], v[212:213]              // 00000000B30C: D3B140D4 1803A926
	v_pk_mul_f32 v[214:215], v[38:39], v[214:215]              // 00000000B314: D3B140D6 1803AD26
	v_mul_f32_dpp v212, v12, v212 row_newbcast:8 row_mask:0xf bank_mask:0xf// 00000000B31C: 0BA9A8FA FF01580C
	v_mul_f32_dpp v213, v12, v213 row_newbcast:9 row_mask:0xf bank_mask:0xf// 00000000B324: 0BABAAFA FF01590C
	v_mul_f32_dpp v214, v12, v214 row_newbcast:10 row_mask:0xf bank_mask:0xf// 00000000B32C: 0BADACFA FF015A0C
	v_mul_f32_dpp v215, v12, v215 row_newbcast:11 row_mask:0xf bank_mask:0xf// 00000000B334: 0BAFAEFA FF015B0C
	v_pk_mul_f32 v[212:213], v[40:41], v[212:213]              // 00000000B33C: D3B140D4 1803A928
	v_pk_mul_f32 v[214:215], v[40:41], v[214:215]              // 00000000B344: D3B140D6 1803AD28
	v_cvt_f32_i32_e32 v220, v220                               // 00000000B34C: 7FB80BDC
	v_cvt_f32_i32_e32 v221, v221                               // 00000000B350: 7FBA0BDD
	v_cvt_f32_i32_e32 v222, v222                               // 00000000B354: 7FBC0BDE
	v_cvt_f32_i32_e32 v223, v223                               // 00000000B358: 7FBE0BDF
	v_pk_mul_f32 v[220:221], v[38:39], v[220:221]              // 00000000B35C: D3B140DC 1803B926
	v_pk_mul_f32 v[222:223], v[38:39], v[222:223]              // 00000000B364: D3B140DE 1803BD26
	v_mul_f32_dpp v220, v12, v220 row_newbcast:12 row_mask:0xf bank_mask:0xf// 00000000B36C: 0BB9B8FA FF015C0C
	v_mul_f32_dpp v221, v12, v221 row_newbcast:13 row_mask:0xf bank_mask:0xf// 00000000B374: 0BBBBAFA FF015D0C
	v_mul_f32_dpp v222, v12, v222 row_newbcast:14 row_mask:0xf bank_mask:0xf// 00000000B37C: 0BBDBCFA FF015E0C
	v_mul_f32_dpp v223, v12, v223 row_newbcast:15 row_mask:0xf bank_mask:0xf// 00000000B384: 0BBFBEFA FF015F0C
	v_pk_mul_f32 v[220:221], v[40:41], v[220:221]              // 00000000B38C: D3B140DC 1803B928
	v_pk_mul_f32 v[222:223], v[40:41], v[222:223]              // 00000000B394: D3B140DE 1803BD28
	v_cvt_pkrtz_f16_f32 v192, v192, v193                       // 00000000B39C: D29600C0 000383C0
	v_cvt_pkrtz_f16_f32 v193, v194, v195                       // 00000000B3A4: D29600C1 000387C2
	v_cvt_pkrtz_f16_f32 v194, v196, v197                       // 00000000B3AC: D29600C2 00038BC4
	v_cvt_pkrtz_f16_f32 v195, v198, v199                       // 00000000B3B4: D29600C3 00038FC6
	v_cvt_pkrtz_f16_f32 v196, v200, v201                       // 00000000B3BC: D29600C4 000393C8
	v_cvt_pkrtz_f16_f32 v197, v202, v203                       // 00000000B3C4: D29600C5 000397CA
	v_cvt_pkrtz_f16_f32 v198, v204, v205                       // 00000000B3CC: D29600C6 00039BCC
	v_cvt_pkrtz_f16_f32 v199, v206, v207                       // 00000000B3D4: D29600C7 00039FCE
	v_cvt_pkrtz_f16_f32 v200, v208, v209                       // 00000000B3DC: D29600C8 0003A3D0
	v_cvt_pkrtz_f16_f32 v201, v210, v211                       // 00000000B3E4: D29600C9 0003A7D2
	v_cvt_pkrtz_f16_f32 v202, v212, v213                       // 00000000B3EC: D29600CA 0003ABD4
	v_cvt_pkrtz_f16_f32 v203, v214, v215                       // 00000000B3F4: D29600CB 0003AFD6
	v_cvt_pkrtz_f16_f32 v204, v216, v217                       // 00000000B3FC: D29600CC 0003B3D8
	v_cvt_pkrtz_f16_f32 v205, v218, v219                       // 00000000B404: D29600CD 0003B7DA
	v_cvt_pkrtz_f16_f32 v206, v220, v221                       // 00000000B40C: D29600CE 0003BBDC
	v_cvt_pkrtz_f16_f32 v207, v222, v223                       // 00000000B414: D29600CF 0003BFDE
	s_cmp_ge_u32 s80, 0x200                                    // 00000000B41C: BF09FF50 00000200
	s_cselect_b32 s59, 0x200, s59                              // 00000000B424: 853B3BFF 00000200
	s_setvskip s20, 0                                          // 00000000B42C: BF108014
	global_atomic_pk_add_f16 v80, v64, s[8:9]                  // 00000000B430: DD388000 00084050
	s_setvskip 0, 0                                            // 00000000B438: BF108080
	s_setvskip s20, 0                                          // 00000000B43C: BF108014
	global_atomic_pk_add_f16 v80, v65, s[8:9] offset:256       // 00000000B440: DD388100 00084150
	s_setvskip 0, 0                                            // 00000000B448: BF108080
	s_setvskip s20, 1                                          // 00000000B44C: BF108114
	global_atomic_pk_add_f16 v82, v66, s[8:9]                  // 00000000B450: DD388000 00084252
	s_setvskip 0, 0                                            // 00000000B458: BF108080
	s_setvskip s20, 1                                          // 00000000B45C: BF108114
	global_atomic_pk_add_f16 v82, v67, s[8:9] offset:256       // 00000000B460: DD388100 00084352
	s_setvskip 0, 0                                            // 00000000B468: BF108080
	s_setvskip s20, 2                                          // 00000000B46C: BF108214
	global_atomic_pk_add_f16 v84, v68, s[8:9]                  // 00000000B470: DD388000 00084454
	s_setvskip 0, 0                                            // 00000000B478: BF108080
	s_setvskip s20, 2                                          // 00000000B47C: BF108214
	global_atomic_pk_add_f16 v84, v69, s[8:9] offset:256       // 00000000B480: DD388100 00084554
	s_setvskip 0, 0                                            // 00000000B488: BF108080
	s_setvskip s20, 3                                          // 00000000B48C: BF108314
	global_atomic_pk_add_f16 v86, v70, s[8:9]                  // 00000000B490: DD388000 00084656
	s_setvskip 0, 0                                            // 00000000B498: BF108080
	s_setvskip s20, 3                                          // 00000000B49C: BF108314
	global_atomic_pk_add_f16 v86, v71, s[8:9] offset:256       // 00000000B4A0: DD388100 00084756
	s_setvskip 0, 0                                            // 00000000B4A8: BF108080
	s_setvskip s20, 4                                          // 00000000B4AC: BF108414
	global_atomic_pk_add_f16 v88, v72, s[8:9]                  // 00000000B4B0: DD388000 00084858
	s_setvskip 0, 0                                            // 00000000B4B8: BF108080
	s_setvskip s20, 4                                          // 00000000B4BC: BF108414
	global_atomic_pk_add_f16 v88, v73, s[8:9] offset:256       // 00000000B4C0: DD388100 00084958
	s_setvskip 0, 0                                            // 00000000B4C8: BF108080
	s_setvskip s20, 5                                          // 00000000B4CC: BF108514
	global_atomic_pk_add_f16 v90, v74, s[8:9]                  // 00000000B4D0: DD388000 00084A5A
	s_setvskip 0, 0                                            // 00000000B4D8: BF108080
	s_setvskip s20, 5                                          // 00000000B4DC: BF108514
	global_atomic_pk_add_f16 v90, v75, s[8:9] offset:256       // 00000000B4E0: DD388100 00084B5A
	s_setvskip 0, 0                                            // 00000000B4E8: BF108080
	s_setvskip s20, 6                                          // 00000000B4EC: BF108614
	global_atomic_pk_add_f16 v92, v76, s[8:9]                  // 00000000B4F0: DD388000 00084C5C
	s_setvskip 0, 0                                            // 00000000B4F8: BF108080
	s_setvskip s20, 6                                          // 00000000B4FC: BF108614
	global_atomic_pk_add_f16 v92, v77, s[8:9] offset:256       // 00000000B500: DD388100 00084D5C
	s_setvskip 0, 0                                            // 00000000B508: BF108080
	s_setvskip s20, 7                                          // 00000000B50C: BF108714
	global_atomic_pk_add_f16 v94, v78, s[8:9]                  // 00000000B510: DD388000 00084E5E
	s_setvskip 0, 0                                            // 00000000B518: BF108080
	s_setvskip s20, 7                                          // 00000000B51C: BF108714
	global_atomic_pk_add_f16 v94, v79, s[8:9] offset:256       // 00000000B520: DD388100 00084F5E
	s_setvskip 0, 0                                            // 00000000B528: BF108080
	s_add_u32 s8, s59, s8                                      // 00000000B52C: 8008083B
	s_addc_u32 s9, 0, s9                                       // 00000000B530: 82090980
	s_addk_i32 s80, 0x100                                      // 00000000B534: B7500100
	s_cmp_lt_i32 s80, s81                                      // 00000000B538: BF045150
	s_cbranch_scc0 label_12D0                                  // 00000000B53C: BF84F100
	s_branch label_1DE0                                        // 00000000B540: BF82FC0F

000000000000b544 <label_21D1>:
	s_cmp_ge_u32 s59, 0                                        // 00000000B544: BF09803B
	s_cselect_b32 s59, 0x200, s59                              // 00000000B548: 853B3BFF 00000200
	s_waitcnt lgkmcnt(0)                                       // 00000000B550: BF8CC07F
	s_barrier                                                  // 00000000B554: BF8A0000
	s_cmp_eq_u32 s64, 0x100                                    // 00000000B558: BF06FF40 00000100
	s_cbranch_scc0 label_224D                                  // 00000000B560: BF840074
	ds_write_b64 v3, v[160:161] offset:2048                    // 00000000B564: D89A0800 0000A003
	ds_write_b64 v3, v[162:163] offset:10752                   // 00000000B56C: D89A2A00 0000A203
	ds_write_b64 v3, v[164:165] offset:4224                    // 00000000B574: D89A1080 0000A403
	ds_write_b64 v3, v[166:167] offset:12928                   // 00000000B57C: D89A3280 0000A603
	ds_write_b64 v3, v[168:169] offset:6400                    // 00000000B584: D89A1900 0000A803
	ds_write_b64 v3, v[170:171] offset:15104                   // 00000000B58C: D89A3B00 0000AA03
	ds_write_b64 v3, v[172:173] offset:8576                    // 00000000B594: D89A2180 0000AC03
	ds_write_b64 v3, v[174:175] offset:17280                   // 00000000B59C: D89A4380 0000AE03
	s_waitcnt lgkmcnt(0)                                       // 00000000B5A4: BF8CC07F
	s_barrier                                                  // 00000000B5A8: BF8A0000
	ds_read_b32 v64, v4 offset:2048                            // 00000000B5AC: D86C0800 40000004
	ds_read_b32 v65, v4 offset:6400                            // 00000000B5B4: D86C1900 41000004
	ds_read_b32 v66, v4 offset:2080                            // 00000000B5BC: D86C0820 42000004
	ds_read_b32 v67, v4 offset:6432                            // 00000000B5C4: D86C1920 43000004
	ds_read_b32 v68, v4 offset:2112                            // 00000000B5CC: D86C0840 44000004
	ds_read_b32 v69, v4 offset:6464                            // 00000000B5D4: D86C1940 45000004
	ds_read_b32 v70, v4 offset:2144                            // 00000000B5DC: D86C0860 46000004
	ds_read_b32 v71, v4 offset:6496                            // 00000000B5E4: D86C1960 47000004
	ds_read_b32 v72, v4 offset:10752                           // 00000000B5EC: D86C2A00 48000004
	ds_read_b32 v73, v4 offset:15104                           // 00000000B5F4: D86C3B00 49000004
	ds_read_b32 v74, v4 offset:10784                           // 00000000B5FC: D86C2A20 4A000004
	ds_read_b32 v75, v4 offset:15136                           // 00000000B604: D86C3B20 4B000004
	ds_read_b32 v76, v4 offset:10816                           // 00000000B60C: D86C2A40 4C000004
	ds_read_b32 v77, v4 offset:15168                           // 00000000B614: D86C3B40 4D000004
	ds_read_b32 v78, v4 offset:10848                           // 00000000B61C: D86C2A60 4E000004
	ds_read_b32 v79, v4 offset:15200                           // 00000000B624: D86C3B60 4F000004
	s_waitcnt lgkmcnt(0)                                       // 00000000B62C: BF8CC07F
	s_setvskip s20, 0                                          // 00000000B630: BF108014
	global_atomic_pk_add_f16 v80, v64, s[8:9]                  // 00000000B634: DD388000 00084050
	s_setvskip 0, 0                                            // 00000000B63C: BF108080
	s_setvskip s20, 0                                          // 00000000B640: BF108014
	global_atomic_pk_add_f16 v80, v65, s[8:9] offset:256       // 00000000B644: DD388100 00084150
	s_setvskip 0, 0                                            // 00000000B64C: BF108080
	s_setvskip s20, 1                                          // 00000000B650: BF108114
	global_atomic_pk_add_f16 v82, v66, s[8:9]                  // 00000000B654: DD388000 00084252
	s_setvskip 0, 0                                            // 00000000B65C: BF108080
	s_setvskip s20, 1                                          // 00000000B660: BF108114
	global_atomic_pk_add_f16 v82, v67, s[8:9] offset:256       // 00000000B664: DD388100 00084352
	s_setvskip 0, 0                                            // 00000000B66C: BF108080
	s_setvskip s20, 2                                          // 00000000B670: BF108214
	global_atomic_pk_add_f16 v84, v68, s[8:9]                  // 00000000B674: DD388000 00084454
	s_setvskip 0, 0                                            // 00000000B67C: BF108080
	s_setvskip s20, 2                                          // 00000000B680: BF108214
	global_atomic_pk_add_f16 v84, v69, s[8:9] offset:256       // 00000000B684: DD388100 00084554
	s_setvskip 0, 0                                            // 00000000B68C: BF108080
	s_setvskip s20, 3                                          // 00000000B690: BF108314
	global_atomic_pk_add_f16 v86, v70, s[8:9]                  // 00000000B694: DD388000 00084656
	s_setvskip 0, 0                                            // 00000000B69C: BF108080
	s_setvskip s20, 3                                          // 00000000B6A0: BF108314
	global_atomic_pk_add_f16 v86, v71, s[8:9] offset:256       // 00000000B6A4: DD388100 00084756
	s_setvskip 0, 0                                            // 00000000B6AC: BF108080
	s_setvskip s20, 4                                          // 00000000B6B0: BF108414
	global_atomic_pk_add_f16 v88, v72, s[8:9]                  // 00000000B6B4: DD388000 00084858
	s_setvskip 0, 0                                            // 00000000B6BC: BF108080
	s_setvskip s20, 4                                          // 00000000B6C0: BF108414
	global_atomic_pk_add_f16 v88, v73, s[8:9] offset:256       // 00000000B6C4: DD388100 00084958
	s_setvskip 0, 0                                            // 00000000B6CC: BF108080
	s_setvskip s20, 5                                          // 00000000B6D0: BF108514
	global_atomic_pk_add_f16 v90, v74, s[8:9]                  // 00000000B6D4: DD388000 00084A5A
	s_setvskip 0, 0                                            // 00000000B6DC: BF108080
	s_setvskip s20, 5                                          // 00000000B6E0: BF108514
	global_atomic_pk_add_f16 v90, v75, s[8:9] offset:256       // 00000000B6E4: DD388100 00084B5A
	s_setvskip 0, 0                                            // 00000000B6EC: BF108080
	s_setvskip s20, 6                                          // 00000000B6F0: BF108614
	global_atomic_pk_add_f16 v92, v76, s[8:9]                  // 00000000B6F4: DD388000 00084C5C
	s_setvskip 0, 0                                            // 00000000B6FC: BF108080
	s_setvskip s20, 6                                          // 00000000B700: BF108614
	global_atomic_pk_add_f16 v92, v77, s[8:9] offset:256       // 00000000B704: DD388100 00084D5C
	s_setvskip 0, 0                                            // 00000000B70C: BF108080
	s_setvskip s20, 7                                          // 00000000B710: BF108714
	global_atomic_pk_add_f16 v94, v78, s[8:9]                  // 00000000B714: DD388000 00084E5E
	s_setvskip 0, 0                                            // 00000000B71C: BF108080
	s_setvskip s20, 7                                          // 00000000B720: BF108714
	global_atomic_pk_add_f16 v94, v79, s[8:9] offset:256       // 00000000B724: DD388100 00084F5E
	s_setvskip 0, 0                                            // 00000000B72C: BF108080
	s_branch label_2323                                        // 00000000B730: BF8200D6

000000000000b734 <label_224D>:
	ds_read_b32 v64, v4 offset:2048                            // 00000000B734: D86C0800 40000004
	ds_read_b32 v65, v4 offset:6400                            // 00000000B73C: D86C1900 41000004
	ds_read_b32 v66, v4 offset:2080                            // 00000000B744: D86C0820 42000004
	ds_read_b32 v67, v4 offset:6432                            // 00000000B74C: D86C1920 43000004
	ds_read_b32 v68, v4 offset:2112                            // 00000000B754: D86C0840 44000004
	ds_read_b32 v69, v4 offset:6464                            // 00000000B75C: D86C1940 45000004
	ds_read_b32 v70, v4 offset:2144                            // 00000000B764: D86C0860 46000004
	ds_read_b32 v71, v4 offset:6496                            // 00000000B76C: D86C1960 47000004
	ds_read_b32 v72, v4 offset:10752                           // 00000000B774: D86C2A00 48000004
	ds_read_b32 v73, v4 offset:15104                           // 00000000B77C: D86C3B00 49000004
	ds_read_b32 v74, v4 offset:10784                           // 00000000B784: D86C2A20 4A000004
	ds_read_b32 v75, v4 offset:15136                           // 00000000B78C: D86C3B20 4B000004
	ds_read_b32 v76, v4 offset:10816                           // 00000000B794: D86C2A40 4C000004
	ds_read_b32 v77, v4 offset:15168                           // 00000000B79C: D86C3B40 4D000004
	ds_read_b32 v78, v4 offset:10848                           // 00000000B7A4: D86C2A60 4E000004
	ds_read_b32 v79, v4 offset:15200                           // 00000000B7AC: D86C3B60 4F000004
	s_waitcnt lgkmcnt(0)                                       // 00000000B7B4: BF8CC07F
	s_setvskip s20, 0                                          // 00000000B7B8: BF108014
	global_atomic_pk_add_f16 v80, v64, s[8:9]                  // 00000000B7BC: DD388000 00084050
	s_setvskip 0, 0                                            // 00000000B7C4: BF108080
	s_setvskip s20, 0                                          // 00000000B7C8: BF108014
	global_atomic_pk_add_f16 v80, v65, s[8:9] offset:256       // 00000000B7CC: DD388100 00084150
	s_setvskip 0, 0                                            // 00000000B7D4: BF108080
	s_setvskip s20, 1                                          // 00000000B7D8: BF108114
	global_atomic_pk_add_f16 v82, v66, s[8:9]                  // 00000000B7DC: DD388000 00084252
	s_setvskip 0, 0                                            // 00000000B7E4: BF108080
	s_setvskip s20, 1                                          // 00000000B7E8: BF108114
	global_atomic_pk_add_f16 v82, v67, s[8:9] offset:256       // 00000000B7EC: DD388100 00084352
	s_setvskip 0, 0                                            // 00000000B7F4: BF108080
	s_setvskip s20, 2                                          // 00000000B7F8: BF108214
	global_atomic_pk_add_f16 v84, v68, s[8:9]                  // 00000000B7FC: DD388000 00084454
	s_setvskip 0, 0                                            // 00000000B804: BF108080
	s_setvskip s20, 2                                          // 00000000B808: BF108214
	global_atomic_pk_add_f16 v84, v69, s[8:9] offset:256       // 00000000B80C: DD388100 00084554
	s_setvskip 0, 0                                            // 00000000B814: BF108080
	s_setvskip s20, 3                                          // 00000000B818: BF108314
	global_atomic_pk_add_f16 v86, v70, s[8:9]                  // 00000000B81C: DD388000 00084656
	s_setvskip 0, 0                                            // 00000000B824: BF108080
	s_setvskip s20, 3                                          // 00000000B828: BF108314
	global_atomic_pk_add_f16 v86, v71, s[8:9] offset:256       // 00000000B82C: DD388100 00084756
	s_setvskip 0, 0                                            // 00000000B834: BF108080
	s_setvskip s20, 4                                          // 00000000B838: BF108414
	global_atomic_pk_add_f16 v88, v72, s[8:9]                  // 00000000B83C: DD388000 00084858
	s_setvskip 0, 0                                            // 00000000B844: BF108080
	s_setvskip s20, 4                                          // 00000000B848: BF108414
	global_atomic_pk_add_f16 v88, v73, s[8:9] offset:256       // 00000000B84C: DD388100 00084958
	s_setvskip 0, 0                                            // 00000000B854: BF108080
	s_setvskip s20, 5                                          // 00000000B858: BF108514
	global_atomic_pk_add_f16 v90, v74, s[8:9]                  // 00000000B85C: DD388000 00084A5A
	s_setvskip 0, 0                                            // 00000000B864: BF108080
	s_setvskip s20, 5                                          // 00000000B868: BF108514
	global_atomic_pk_add_f16 v90, v75, s[8:9] offset:256       // 00000000B86C: DD388100 00084B5A
	s_setvskip 0, 0                                            // 00000000B874: BF108080
	s_setvskip s20, 6                                          // 00000000B878: BF108614
	global_atomic_pk_add_f16 v92, v76, s[8:9]                  // 00000000B87C: DD388000 00084C5C
	s_setvskip 0, 0                                            // 00000000B884: BF108080
	s_setvskip s20, 6                                          // 00000000B888: BF108614
	global_atomic_pk_add_f16 v92, v77, s[8:9] offset:256       // 00000000B88C: DD388100 00084D5C
	s_setvskip 0, 0                                            // 00000000B894: BF108080
	s_setvskip s20, 7                                          // 00000000B898: BF108714
	global_atomic_pk_add_f16 v94, v78, s[8:9]                  // 00000000B89C: DD388000 00084E5E
	s_setvskip 0, 0                                            // 00000000B8A4: BF108080
	s_setvskip s20, 7                                          // 00000000B8A8: BF108714
	global_atomic_pk_add_f16 v94, v79, s[8:9] offset:256       // 00000000B8AC: DD388100 00084F5E
	s_setvskip 0, 0                                            // 00000000B8B4: BF108080
	s_add_u32 s8, s59, s8                                      // 00000000B8B8: 8008083B
	s_addc_u32 s9, 0, s9                                       // 00000000B8BC: 82090980
	ds_write_b64 v3, v[192:193] offset:19456                   // 00000000B8C0: D89A4C00 0000C003
	ds_write_b64 v3, v[194:195] offset:28160                   // 00000000B8C8: D89A6E00 0000C203
	ds_write_b64 v3, v[196:197] offset:21632                   // 00000000B8D0: D89A5480 0000C403
	ds_write_b64 v3, v[198:199] offset:30336                   // 00000000B8D8: D89A7680 0000C603
	ds_write_b64 v3, v[200:201] offset:23808                   // 00000000B8E0: D89A5D00 0000C803
	ds_write_b64 v3, v[202:203] offset:32512                   // 00000000B8E8: D89A7F00 0000CA03
	ds_write_b64 v3, v[204:205] offset:25984                   // 00000000B8F0: D89A6580 0000CC03
	ds_write_b64 v3, v[206:207] offset:34688                   // 00000000B8F8: D89A8780 0000CE03
	s_waitcnt lgkmcnt(0)                                       // 00000000B900: BF8CC07F
	s_barrier                                                  // 00000000B904: BF8A0000
	ds_read_b32 v64, v4 offset:19456                           // 00000000B908: D86C4C00 40000004
	ds_read_b32 v65, v4 offset:23808                           // 00000000B910: D86C5D00 41000004
	ds_read_b32 v66, v4 offset:19488                           // 00000000B918: D86C4C20 42000004
	ds_read_b32 v67, v4 offset:23840                           // 00000000B920: D86C5D20 43000004
	ds_read_b32 v68, v4 offset:19520                           // 00000000B928: D86C4C40 44000004
	ds_read_b32 v69, v4 offset:23872                           // 00000000B930: D86C5D40 45000004
	ds_read_b32 v70, v4 offset:19552                           // 00000000B938: D86C4C60 46000004
	ds_read_b32 v71, v4 offset:23904                           // 00000000B940: D86C5D60 47000004
	ds_read_b32 v72, v4 offset:28160                           // 00000000B948: D86C6E00 48000004
	ds_read_b32 v73, v4 offset:32512                           // 00000000B950: D86C7F00 49000004
	ds_read_b32 v74, v4 offset:28192                           // 00000000B958: D86C6E20 4A000004
	ds_read_b32 v75, v4 offset:32544                           // 00000000B960: D86C7F20 4B000004
	ds_read_b32 v76, v4 offset:28224                           // 00000000B968: D86C6E40 4C000004
	ds_read_b32 v77, v4 offset:32576                           // 00000000B970: D86C7F40 4D000004
	ds_read_b32 v78, v4 offset:28256                           // 00000000B978: D86C6E60 4E000004
	ds_read_b32 v79, v4 offset:32608                           // 00000000B980: D86C7F60 4F000004
	s_waitcnt lgkmcnt(0)                                       // 00000000B988: BF8CC07F
	s_setvskip s20, 0                                          // 00000000B98C: BF108014
	global_atomic_pk_add_f16 v80, v64, s[8:9]                  // 00000000B990: DD388000 00084050
	s_setvskip 0, 0                                            // 00000000B998: BF108080
	s_setvskip s20, 0                                          // 00000000B99C: BF108014
	global_atomic_pk_add_f16 v80, v65, s[8:9] offset:256       // 00000000B9A0: DD388100 00084150
	s_setvskip 0, 0                                            // 00000000B9A8: BF108080
	s_setvskip s20, 1                                          // 00000000B9AC: BF108114
	global_atomic_pk_add_f16 v82, v66, s[8:9]                  // 00000000B9B0: DD388000 00084252
	s_setvskip 0, 0                                            // 00000000B9B8: BF108080
	s_setvskip s20, 1                                          // 00000000B9BC: BF108114
	global_atomic_pk_add_f16 v82, v67, s[8:9] offset:256       // 00000000B9C0: DD388100 00084352
	s_setvskip 0, 0                                            // 00000000B9C8: BF108080
	s_setvskip s20, 2                                          // 00000000B9CC: BF108214
	global_atomic_pk_add_f16 v84, v68, s[8:9]                  // 00000000B9D0: DD388000 00084454
	s_setvskip 0, 0                                            // 00000000B9D8: BF108080
	s_setvskip s20, 2                                          // 00000000B9DC: BF108214
	global_atomic_pk_add_f16 v84, v69, s[8:9] offset:256       // 00000000B9E0: DD388100 00084554
	s_setvskip 0, 0                                            // 00000000B9E8: BF108080
	s_setvskip s20, 3                                          // 00000000B9EC: BF108314
	global_atomic_pk_add_f16 v86, v70, s[8:9]                  // 00000000B9F0: DD388000 00084656
	s_setvskip 0, 0                                            // 00000000B9F8: BF108080
	s_setvskip s20, 3                                          // 00000000B9FC: BF108314
	global_atomic_pk_add_f16 v86, v71, s[8:9] offset:256       // 00000000BA00: DD388100 00084756
	s_setvskip 0, 0                                            // 00000000BA08: BF108080
	s_setvskip s20, 4                                          // 00000000BA0C: BF108414
	global_atomic_pk_add_f16 v88, v72, s[8:9]                  // 00000000BA10: DD388000 00084858
	s_setvskip 0, 0                                            // 00000000BA18: BF108080
	s_setvskip s20, 4                                          // 00000000BA1C: BF108414
	global_atomic_pk_add_f16 v88, v73, s[8:9] offset:256       // 00000000BA20: DD388100 00084958
	s_setvskip 0, 0                                            // 00000000BA28: BF108080
	s_setvskip s20, 5                                          // 00000000BA2C: BF108514
	global_atomic_pk_add_f16 v90, v74, s[8:9]                  // 00000000BA30: DD388000 00084A5A
	s_setvskip 0, 0                                            // 00000000BA38: BF108080
	s_setvskip s20, 5                                          // 00000000BA3C: BF108514
	global_atomic_pk_add_f16 v90, v75, s[8:9] offset:256       // 00000000BA40: DD388100 00084B5A
	s_setvskip 0, 0                                            // 00000000BA48: BF108080
	s_setvskip s20, 6                                          // 00000000BA4C: BF108614
	global_atomic_pk_add_f16 v92, v76, s[8:9]                  // 00000000BA50: DD388000 00084C5C
	s_setvskip 0, 0                                            // 00000000BA58: BF108080
	s_setvskip s20, 6                                          // 00000000BA5C: BF108614
	global_atomic_pk_add_f16 v92, v77, s[8:9] offset:256       // 00000000BA60: DD388100 00084D5C
	s_setvskip 0, 0                                            // 00000000BA68: BF108080
	s_setvskip s20, 7                                          // 00000000BA6C: BF108714
	global_atomic_pk_add_f16 v94, v78, s[8:9]                  // 00000000BA70: DD388000 00084E5E
	s_setvskip 0, 0                                            // 00000000BA78: BF108080
	s_setvskip s20, 7                                          // 00000000BA7C: BF108714
	global_atomic_pk_add_f16 v94, v79, s[8:9] offset:256       // 00000000BA80: DD388100 00084F5E
	s_setvskip 0, 0                                            // 00000000BA88: BF108080

000000000000ba8c <label_2323>:
	s_waitcnt vmcnt(0) expcnt(0) lgkmcnt(0)                    // 00000000BA8C: BF8C0000
	s_endpgm                                                   // 00000000BA90: BF810000
